;; amdgpu-corpus repo=ROCm/rocFFT kind=compiled arch=gfx1030 opt=O3
	.text
	.amdgcn_target "amdgcn-amd-amdhsa--gfx1030"
	.amdhsa_code_object_version 6
	.protected	fft_rtc_fwd_len1700_factors_17_10_10_wgs_170_tpt_170_halfLds_dp_op_CI_CI_unitstride_sbrr_C2R_dirReg ; -- Begin function fft_rtc_fwd_len1700_factors_17_10_10_wgs_170_tpt_170_halfLds_dp_op_CI_CI_unitstride_sbrr_C2R_dirReg
	.globl	fft_rtc_fwd_len1700_factors_17_10_10_wgs_170_tpt_170_halfLds_dp_op_CI_CI_unitstride_sbrr_C2R_dirReg
	.p2align	8
	.type	fft_rtc_fwd_len1700_factors_17_10_10_wgs_170_tpt_170_halfLds_dp_op_CI_CI_unitstride_sbrr_C2R_dirReg,@function
fft_rtc_fwd_len1700_factors_17_10_10_wgs_170_tpt_170_halfLds_dp_op_CI_CI_unitstride_sbrr_C2R_dirReg: ; @fft_rtc_fwd_len1700_factors_17_10_10_wgs_170_tpt_170_halfLds_dp_op_CI_CI_unitstride_sbrr_C2R_dirReg
; %bb.0:
	s_clause 0x2
	s_load_dwordx4 s[12:15], s[4:5], 0x0
	s_load_dwordx4 s[8:11], s[4:5], 0x58
	;; [unrolled: 1-line block ×3, first 2 shown]
	v_mul_u32_u24_e32 v1, 0x182, v0
	v_mov_b32_e32 v3, 0
	v_add_nc_u32_sdwa v5, s6, v1 dst_sel:DWORD dst_unused:UNUSED_PAD src0_sel:DWORD src1_sel:WORD_1
	v_mov_b32_e32 v1, 0
	v_mov_b32_e32 v6, v3
	v_mov_b32_e32 v2, 0
	s_waitcnt lgkmcnt(0)
	v_cmp_lt_u64_e64 s0, s[14:15], 2
	s_and_b32 vcc_lo, exec_lo, s0
	s_cbranch_vccnz .LBB0_8
; %bb.1:
	s_load_dwordx2 s[0:1], s[4:5], 0x10
	v_mov_b32_e32 v1, 0
	v_mov_b32_e32 v2, 0
	s_add_u32 s2, s18, 8
	s_addc_u32 s3, s19, 0
	s_add_u32 s6, s16, 8
	s_addc_u32 s7, s17, 0
	v_mov_b32_e32 v69, v2
	v_mov_b32_e32 v68, v1
	s_mov_b64 s[22:23], 1
	s_waitcnt lgkmcnt(0)
	s_add_u32 s20, s0, 8
	s_addc_u32 s21, s1, 0
.LBB0_2:                                ; =>This Inner Loop Header: Depth=1
	s_load_dwordx2 s[24:25], s[20:21], 0x0
                                        ; implicit-def: $vgpr70_vgpr71
	s_mov_b32 s0, exec_lo
	s_waitcnt lgkmcnt(0)
	v_or_b32_e32 v4, s25, v6
	v_cmpx_ne_u64_e32 0, v[3:4]
	s_xor_b32 s1, exec_lo, s0
	s_cbranch_execz .LBB0_4
; %bb.3:                                ;   in Loop: Header=BB0_2 Depth=1
	v_cvt_f32_u32_e32 v4, s24
	v_cvt_f32_u32_e32 v7, s25
	s_sub_u32 s0, 0, s24
	s_subb_u32 s26, 0, s25
	v_fmac_f32_e32 v4, 0x4f800000, v7
	v_rcp_f32_e32 v4, v4
	v_mul_f32_e32 v4, 0x5f7ffffc, v4
	v_mul_f32_e32 v7, 0x2f800000, v4
	v_trunc_f32_e32 v7, v7
	v_fmac_f32_e32 v4, 0xcf800000, v7
	v_cvt_u32_f32_e32 v7, v7
	v_cvt_u32_f32_e32 v4, v4
	v_mul_lo_u32 v8, s0, v7
	v_mul_hi_u32 v9, s0, v4
	v_mul_lo_u32 v10, s26, v4
	v_add_nc_u32_e32 v8, v9, v8
	v_mul_lo_u32 v9, s0, v4
	v_add_nc_u32_e32 v8, v8, v10
	v_mul_hi_u32 v10, v4, v9
	v_mul_lo_u32 v11, v4, v8
	v_mul_hi_u32 v12, v4, v8
	v_mul_hi_u32 v13, v7, v9
	v_mul_lo_u32 v9, v7, v9
	v_mul_hi_u32 v14, v7, v8
	v_mul_lo_u32 v8, v7, v8
	v_add_co_u32 v10, vcc_lo, v10, v11
	v_add_co_ci_u32_e32 v11, vcc_lo, 0, v12, vcc_lo
	v_add_co_u32 v9, vcc_lo, v10, v9
	v_add_co_ci_u32_e32 v9, vcc_lo, v11, v13, vcc_lo
	v_add_co_ci_u32_e32 v10, vcc_lo, 0, v14, vcc_lo
	v_add_co_u32 v8, vcc_lo, v9, v8
	v_add_co_ci_u32_e32 v9, vcc_lo, 0, v10, vcc_lo
	v_add_co_u32 v4, vcc_lo, v4, v8
	v_add_co_ci_u32_e32 v7, vcc_lo, v7, v9, vcc_lo
	v_mul_hi_u32 v8, s0, v4
	v_mul_lo_u32 v10, s26, v4
	v_mul_lo_u32 v9, s0, v7
	v_add_nc_u32_e32 v8, v8, v9
	v_mul_lo_u32 v9, s0, v4
	v_add_nc_u32_e32 v8, v8, v10
	v_mul_hi_u32 v10, v4, v9
	v_mul_lo_u32 v11, v4, v8
	v_mul_hi_u32 v12, v4, v8
	v_mul_hi_u32 v13, v7, v9
	v_mul_lo_u32 v9, v7, v9
	v_mul_hi_u32 v14, v7, v8
	v_mul_lo_u32 v8, v7, v8
	v_add_co_u32 v10, vcc_lo, v10, v11
	v_add_co_ci_u32_e32 v11, vcc_lo, 0, v12, vcc_lo
	v_add_co_u32 v9, vcc_lo, v10, v9
	v_add_co_ci_u32_e32 v9, vcc_lo, v11, v13, vcc_lo
	v_add_co_ci_u32_e32 v10, vcc_lo, 0, v14, vcc_lo
	v_add_co_u32 v8, vcc_lo, v9, v8
	v_add_co_ci_u32_e32 v9, vcc_lo, 0, v10, vcc_lo
	v_add_co_u32 v4, vcc_lo, v4, v8
	v_add_co_ci_u32_e32 v11, vcc_lo, v7, v9, vcc_lo
	v_mul_hi_u32 v13, v5, v4
	v_mad_u64_u32 v[9:10], null, v6, v4, 0
	v_mad_u64_u32 v[7:8], null, v5, v11, 0
	;; [unrolled: 1-line block ×3, first 2 shown]
	v_add_co_u32 v4, vcc_lo, v13, v7
	v_add_co_ci_u32_e32 v7, vcc_lo, 0, v8, vcc_lo
	v_add_co_u32 v4, vcc_lo, v4, v9
	v_add_co_ci_u32_e32 v4, vcc_lo, v7, v10, vcc_lo
	v_add_co_ci_u32_e32 v7, vcc_lo, 0, v12, vcc_lo
	v_add_co_u32 v4, vcc_lo, v4, v11
	v_add_co_ci_u32_e32 v9, vcc_lo, 0, v7, vcc_lo
	v_mul_lo_u32 v10, s25, v4
	v_mad_u64_u32 v[7:8], null, s24, v4, 0
	v_mul_lo_u32 v11, s24, v9
	v_sub_co_u32 v7, vcc_lo, v5, v7
	v_add3_u32 v8, v8, v11, v10
	v_sub_nc_u32_e32 v10, v6, v8
	v_subrev_co_ci_u32_e64 v10, s0, s25, v10, vcc_lo
	v_add_co_u32 v11, s0, v4, 2
	v_add_co_ci_u32_e64 v12, s0, 0, v9, s0
	v_sub_co_u32 v13, s0, v7, s24
	v_sub_co_ci_u32_e32 v8, vcc_lo, v6, v8, vcc_lo
	v_subrev_co_ci_u32_e64 v10, s0, 0, v10, s0
	v_cmp_le_u32_e32 vcc_lo, s24, v13
	v_cmp_eq_u32_e64 s0, s25, v8
	v_cndmask_b32_e64 v13, 0, -1, vcc_lo
	v_cmp_le_u32_e32 vcc_lo, s25, v10
	v_cndmask_b32_e64 v14, 0, -1, vcc_lo
	v_cmp_le_u32_e32 vcc_lo, s24, v7
	;; [unrolled: 2-line block ×3, first 2 shown]
	v_cndmask_b32_e64 v15, 0, -1, vcc_lo
	v_cmp_eq_u32_e32 vcc_lo, s25, v10
	v_cndmask_b32_e64 v7, v15, v7, s0
	v_cndmask_b32_e32 v10, v14, v13, vcc_lo
	v_add_co_u32 v13, vcc_lo, v4, 1
	v_add_co_ci_u32_e32 v14, vcc_lo, 0, v9, vcc_lo
	v_cmp_ne_u32_e32 vcc_lo, 0, v10
	v_cndmask_b32_e32 v8, v14, v12, vcc_lo
	v_cndmask_b32_e32 v10, v13, v11, vcc_lo
	v_cmp_ne_u32_e32 vcc_lo, 0, v7
	v_cndmask_b32_e32 v71, v9, v8, vcc_lo
	v_cndmask_b32_e32 v70, v4, v10, vcc_lo
.LBB0_4:                                ;   in Loop: Header=BB0_2 Depth=1
	s_andn2_saveexec_b32 s0, s1
	s_cbranch_execz .LBB0_6
; %bb.5:                                ;   in Loop: Header=BB0_2 Depth=1
	v_cvt_f32_u32_e32 v4, s24
	s_sub_i32 s1, 0, s24
	v_mov_b32_e32 v71, v3
	v_rcp_iflag_f32_e32 v4, v4
	v_mul_f32_e32 v4, 0x4f7ffffe, v4
	v_cvt_u32_f32_e32 v4, v4
	v_mul_lo_u32 v7, s1, v4
	v_mul_hi_u32 v7, v4, v7
	v_add_nc_u32_e32 v4, v4, v7
	v_mul_hi_u32 v4, v5, v4
	v_mul_lo_u32 v7, v4, s24
	v_add_nc_u32_e32 v8, 1, v4
	v_sub_nc_u32_e32 v7, v5, v7
	v_subrev_nc_u32_e32 v9, s24, v7
	v_cmp_le_u32_e32 vcc_lo, s24, v7
	v_cndmask_b32_e32 v7, v7, v9, vcc_lo
	v_cndmask_b32_e32 v4, v4, v8, vcc_lo
	v_cmp_le_u32_e32 vcc_lo, s24, v7
	v_add_nc_u32_e32 v8, 1, v4
	v_cndmask_b32_e32 v70, v4, v8, vcc_lo
.LBB0_6:                                ;   in Loop: Header=BB0_2 Depth=1
	s_or_b32 exec_lo, exec_lo, s0
	v_mul_lo_u32 v4, v71, s24
	v_mul_lo_u32 v9, v70, s25
	s_load_dwordx2 s[0:1], s[6:7], 0x0
	v_mad_u64_u32 v[7:8], null, v70, s24, 0
	s_load_dwordx2 s[24:25], s[2:3], 0x0
	s_add_u32 s22, s22, 1
	s_addc_u32 s23, s23, 0
	s_add_u32 s2, s2, 8
	s_addc_u32 s3, s3, 0
	s_add_u32 s6, s6, 8
	v_add3_u32 v4, v8, v9, v4
	v_sub_co_u32 v5, vcc_lo, v5, v7
	s_addc_u32 s7, s7, 0
	s_add_u32 s20, s20, 8
	v_sub_co_ci_u32_e32 v4, vcc_lo, v6, v4, vcc_lo
	s_addc_u32 s21, s21, 0
	s_waitcnt lgkmcnt(0)
	v_mul_lo_u32 v6, s0, v4
	v_mul_lo_u32 v7, s1, v5
	v_mad_u64_u32 v[1:2], null, s0, v5, v[1:2]
	v_mul_lo_u32 v4, s24, v4
	v_mul_lo_u32 v8, s25, v5
	v_mad_u64_u32 v[68:69], null, s24, v5, v[68:69]
	v_cmp_ge_u64_e64 s0, s[22:23], s[14:15]
	v_add3_u32 v2, v7, v2, v6
	v_add3_u32 v69, v8, v69, v4
	s_and_b32 vcc_lo, exec_lo, s0
	s_cbranch_vccnz .LBB0_9
; %bb.7:                                ;   in Loop: Header=BB0_2 Depth=1
	v_mov_b32_e32 v5, v70
	v_mov_b32_e32 v6, v71
	s_branch .LBB0_2
.LBB0_8:
	v_mov_b32_e32 v69, v2
	v_mov_b32_e32 v71, v6
	;; [unrolled: 1-line block ×4, first 2 shown]
.LBB0_9:
	s_load_dwordx2 s[0:1], s[4:5], 0x28
	v_mul_hi_u32 v3, 0x1818182, v0
	s_lshl_b64 s[4:5], s[14:15], 3
                                        ; implicit-def: $vgpr72
	s_add_u32 s2, s18, s4
	s_addc_u32 s3, s19, s5
	s_waitcnt lgkmcnt(0)
	v_cmp_gt_u64_e32 vcc_lo, s[0:1], v[70:71]
	v_cmp_le_u64_e64 s0, s[0:1], v[70:71]
	s_and_saveexec_b32 s1, s0
	s_xor_b32 s0, exec_lo, s1
; %bb.10:
	v_mul_u32_u24_e32 v1, 0xaa, v3
                                        ; implicit-def: $vgpr3
	v_sub_nc_u32_e32 v72, v0, v1
                                        ; implicit-def: $vgpr0
                                        ; implicit-def: $vgpr1_vgpr2
; %bb.11:
	s_or_saveexec_b32 s1, s0
	s_load_dwordx2 s[2:3], s[2:3], 0x0
	s_xor_b32 exec_lo, exec_lo, s1
	s_cbranch_execz .LBB0_15
; %bb.12:
	s_add_u32 s4, s16, s4
	s_addc_u32 s5, s17, s5
	v_lshlrev_b64 v[1:2], 4, v[1:2]
	s_load_dwordx2 s[4:5], s[4:5], 0x0
	s_waitcnt lgkmcnt(0)
	v_mul_lo_u32 v6, s5, v70
	v_mul_lo_u32 v7, s4, v71
	v_mad_u64_u32 v[4:5], null, s4, v70, 0
	s_mov_b32 s4, exec_lo
	v_add3_u32 v5, v5, v7, v6
	v_mul_u32_u24_e32 v6, 0xaa, v3
	v_lshlrev_b64 v[3:4], 4, v[4:5]
	v_sub_nc_u32_e32 v72, v0, v6
	v_lshlrev_b32_e32 v42, 4, v72
	v_add_co_u32 v0, s0, s8, v3
	v_add_co_ci_u32_e64 v3, s0, s9, v4, s0
	v_add_co_u32 v0, s0, v0, v1
	v_add_co_ci_u32_e64 v1, s0, v3, v2, s0
	;; [unrolled: 2-line block ×3, first 2 shown]
	v_add_nc_u32_e32 v42, 0, v42
	v_add_co_u32 v6, s0, 0x800, v2
	v_add_co_ci_u32_e64 v7, s0, 0, v3, s0
	v_add_co_u32 v10, s0, 0x1000, v2
	v_add_co_ci_u32_e64 v11, s0, 0, v3, s0
	;; [unrolled: 2-line block ×9, first 2 shown]
	s_clause 0x9
	global_load_dwordx4 v[2:5], v[2:3], off
	global_load_dwordx4 v[6:9], v[6:7], off offset:672
	global_load_dwordx4 v[10:13], v[10:11], off offset:1344
	;; [unrolled: 1-line block ×9, first 2 shown]
	s_waitcnt vmcnt(9)
	ds_write_b128 v42, v[2:5]
	s_waitcnt vmcnt(8)
	ds_write_b128 v42, v[6:9] offset:2720
	s_waitcnt vmcnt(7)
	ds_write_b128 v42, v[10:13] offset:5440
	;; [unrolled: 2-line block ×9, first 2 shown]
	v_cmpx_eq_u32_e32 0xa9, v72
	s_cbranch_execz .LBB0_14
; %bb.13:
	v_add_co_u32 v0, s0, 0x6800, v0
	v_add_co_ci_u32_e64 v1, s0, 0, v1, s0
	v_mov_b32_e32 v4, 0
	v_mov_b32_e32 v72, 0xa9
	global_load_dwordx4 v[0:3], v[0:1], off offset:576
	s_waitcnt vmcnt(0)
	ds_write_b128 v4, v[0:3] offset:27200
.LBB0_14:
	s_or_b32 exec_lo, exec_lo, s4
.LBB0_15:
	s_or_b32 exec_lo, exec_lo, s1
	v_lshlrev_b32_e32 v0, 4, v72
	s_waitcnt lgkmcnt(0)
	s_barrier
	buffer_gl0_inv
	s_add_u32 s1, s12, 0x6930
	v_add_nc_u32_e32 v107, 0, v0
	v_sub_nc_u32_e32 v8, 0, v0
	s_addc_u32 s4, s13, 0
	s_mov_b32 s5, exec_lo
	ds_read_b64 v[4:5], v107
	ds_read_b64 v[6:7], v8 offset:27200
	s_waitcnt lgkmcnt(0)
	v_add_f64 v[0:1], v[4:5], v[6:7]
	v_add_f64 v[2:3], v[4:5], -v[6:7]
	v_cmpx_ne_u32_e32 0, v72
	s_xor_b32 s5, exec_lo, s5
	s_cbranch_execz .LBB0_17
; %bb.16:
	v_mov_b32_e32 v73, 0
	v_add_f64 v[13:14], v[4:5], v[6:7]
	v_add_f64 v[15:16], v[4:5], -v[6:7]
	v_lshlrev_b64 v[0:1], 4, v[72:73]
	v_add_co_u32 v0, s0, s1, v0
	v_add_co_ci_u32_e64 v1, s0, s4, v1, s0
	global_load_dwordx4 v[9:12], v[0:1], off
	ds_read_b64 v[0:1], v8 offset:27208
	ds_read_b64 v[2:3], v107 offset:8
	s_waitcnt lgkmcnt(0)
	v_add_f64 v[4:5], v[0:1], v[2:3]
	v_add_f64 v[0:1], v[2:3], -v[0:1]
	s_waitcnt vmcnt(0)
	v_fma_f64 v[2:3], v[15:16], v[11:12], v[13:14]
	v_fma_f64 v[6:7], -v[15:16], v[11:12], v[13:14]
	v_fma_f64 v[13:14], v[4:5], v[11:12], -v[0:1]
	v_fma_f64 v[11:12], v[4:5], v[11:12], v[0:1]
	v_fma_f64 v[0:1], -v[4:5], v[9:10], v[2:3]
	v_fma_f64 v[4:5], v[4:5], v[9:10], v[6:7]
	v_fma_f64 v[6:7], v[15:16], v[9:10], v[13:14]
	;; [unrolled: 1-line block ×3, first 2 shown]
	ds_write_b128 v8, v[4:7] offset:27200
.LBB0_17:
	s_andn2_saveexec_b32 s0, s5
	s_cbranch_execz .LBB0_19
; %bb.18:
	v_mov_b32_e32 v9, 0
	ds_read_b128 v[4:7], v9 offset:13600
	s_waitcnt lgkmcnt(0)
	v_add_f64 v[4:5], v[4:5], v[4:5]
	v_mul_f64 v[6:7], v[6:7], -2.0
	ds_write_b128 v9, v[4:7] offset:13600
.LBB0_19:
	s_or_b32 exec_lo, exec_lo, s0
	v_add_nc_u32_e32 v17, 0xaa, v72
	v_mov_b32_e32 v18, 0
	ds_write_b128 v107, v[0:3]
	s_mov_b32 s33, exec_lo
	v_lshlrev_b64 v[4:5], 4, v[17:18]
	v_add_nc_u32_e32 v17, 0x154, v72
	v_lshlrev_b64 v[9:10], 4, v[17:18]
	v_add_co_u32 v4, s0, s1, v4
	v_add_co_ci_u32_e64 v5, s0, s4, v5, s0
	v_add_nc_u32_e32 v17, 0x1fe, v72
	v_add_co_u32 v9, s0, s1, v9
	global_load_dwordx4 v[4:7], v[4:5], off
	v_add_co_ci_u32_e64 v10, s0, s4, v10, s0
	v_lshlrev_b64 v[13:14], 4, v[17:18]
	v_add_nc_u32_e32 v17, 0x2a8, v72
	global_load_dwordx4 v[9:12], v[9:10], off
	v_add_co_u32 v13, s0, s1, v13
	v_add_co_ci_u32_e64 v14, s0, s4, v14, s0
	v_lshlrev_b64 v[17:18], 4, v[17:18]
	global_load_dwordx4 v[13:16], v[13:14], off
	v_add_co_u32 v21, s0, s1, v17
	v_add_co_ci_u32_e64 v22, s0, s4, v18, s0
	ds_read_b128 v[0:3], v107 offset:2720
	ds_read_b128 v[17:20], v8 offset:24480
	global_load_dwordx4 v[21:24], v[21:22], off
	s_waitcnt lgkmcnt(0)
	v_add_f64 v[25:26], v[0:1], v[17:18]
	v_add_f64 v[27:28], v[19:20], v[2:3]
	v_add_f64 v[29:30], v[0:1], -v[17:18]
	v_add_f64 v[0:1], v[2:3], -v[19:20]
	s_waitcnt vmcnt(3)
	v_fma_f64 v[2:3], v[29:30], v[6:7], v[25:26]
	v_fma_f64 v[17:18], v[27:28], v[6:7], v[0:1]
	v_fma_f64 v[19:20], -v[29:30], v[6:7], v[25:26]
	v_fma_f64 v[6:7], v[27:28], v[6:7], -v[0:1]
	v_fma_f64 v[0:1], -v[27:28], v[4:5], v[2:3]
	v_fma_f64 v[2:3], v[29:30], v[4:5], v[17:18]
	v_fma_f64 v[17:18], v[27:28], v[4:5], v[19:20]
	v_fma_f64 v[19:20], v[29:30], v[4:5], v[6:7]
	ds_write_b128 v107, v[0:3] offset:2720
	ds_write_b128 v8, v[17:20] offset:24480
	ds_read_b128 v[0:3], v107 offset:5440
	ds_read_b128 v[4:7], v8 offset:21760
	s_waitcnt lgkmcnt(0)
	v_add_f64 v[17:18], v[0:1], v[4:5]
	v_add_f64 v[19:20], v[6:7], v[2:3]
	v_add_f64 v[25:26], v[0:1], -v[4:5]
	v_add_f64 v[0:1], v[2:3], -v[6:7]
	s_waitcnt vmcnt(2)
	v_fma_f64 v[2:3], v[25:26], v[11:12], v[17:18]
	v_fma_f64 v[4:5], v[19:20], v[11:12], v[0:1]
	v_fma_f64 v[6:7], -v[25:26], v[11:12], v[17:18]
	v_fma_f64 v[11:12], v[19:20], v[11:12], -v[0:1]
	v_fma_f64 v[0:1], -v[19:20], v[9:10], v[2:3]
	v_fma_f64 v[2:3], v[25:26], v[9:10], v[4:5]
	v_fma_f64 v[4:5], v[19:20], v[9:10], v[6:7]
	v_fma_f64 v[6:7], v[25:26], v[9:10], v[11:12]
	ds_write_b128 v107, v[0:3] offset:5440
	ds_write_b128 v8, v[4:7] offset:21760
	ds_read_b128 v[0:3], v107 offset:8160
	ds_read_b128 v[4:7], v8 offset:19040
	;; [unrolled: 18-line block ×3, first 2 shown]
	s_waitcnt lgkmcnt(0)
	v_add_f64 v[9:10], v[0:1], v[4:5]
	v_add_f64 v[11:12], v[6:7], v[2:3]
	v_add_f64 v[13:14], v[0:1], -v[4:5]
	v_add_f64 v[0:1], v[2:3], -v[6:7]
	s_waitcnt vmcnt(0)
	v_fma_f64 v[2:3], v[13:14], v[23:24], v[9:10]
	v_fma_f64 v[4:5], v[11:12], v[23:24], v[0:1]
	v_fma_f64 v[6:7], -v[13:14], v[23:24], v[9:10]
	v_fma_f64 v[9:10], v[11:12], v[23:24], -v[0:1]
	v_fma_f64 v[0:1], -v[11:12], v[21:22], v[2:3]
	v_fma_f64 v[2:3], v[13:14], v[21:22], v[4:5]
	v_fma_f64 v[4:5], v[11:12], v[21:22], v[6:7]
	;; [unrolled: 1-line block ×3, first 2 shown]
	ds_write_b128 v107, v[0:3] offset:10880
	ds_write_b128 v8, v[4:7] offset:16320
	s_waitcnt lgkmcnt(0)
	s_barrier
	buffer_gl0_inv
	s_barrier
	buffer_gl0_inv
	ds_read_b128 v[0:3], v107
	ds_read_b128 v[64:67], v107 offset:1600
	ds_read_b128 v[60:63], v107 offset:3200
	;; [unrolled: 1-line block ×16, first 2 shown]
	s_waitcnt lgkmcnt(0)
	s_barrier
	buffer_gl0_inv
	v_cmpx_gt_u32_e32 0x64, v72
	s_cbranch_execz .LBB0_21
; %bb.20:
	v_add_f64 v[73:74], v[2:3], v[66:67]
	v_add_f64 v[75:76], v[0:1], v[64:65]
	;; [unrolled: 1-line block ×3, first 2 shown]
	v_add_f64 v[95:96], v[66:67], -v[6:7]
	s_mov_b32 s0, 0x7faef3
	s_mov_b32 s4, 0xacd6c6b4
	;; [unrolled: 1-line block ×6, first 2 shown]
	v_add_f64 v[81:82], v[62:63], v[10:11]
	v_add_f64 v[89:90], v[64:65], -v[4:5]
	v_add_f64 v[87:88], v[64:65], v[4:5]
	s_mov_b32 s8, 0x370991
	s_mov_b32 s14, 0x5d8e7cdc
	;; [unrolled: 1-line block ×6, first 2 shown]
	v_add_f64 v[79:80], v[58:59], v[14:15]
	s_mov_b32 s18, 0x910ea3b9
	s_mov_b32 s20, 0x4363dd80
	v_add_f64 v[66:67], v[73:74], v[62:63]
	v_add_f64 v[77:78], v[75:76], v[60:61]
	v_add_f64 v[75:76], v[62:63], -v[10:11]
	v_mul_f64 v[83:84], v[97:98], s[0:1]
	v_mul_f64 v[85:86], v[95:96], s[6:7]
	v_add_f64 v[73:74], v[58:59], -v[14:15]
	v_add_f64 v[62:63], v[60:61], -v[8:9]
	v_add_f64 v[60:61], v[60:61], v[8:9]
	s_mov_b32 s19, 0xbfeb34fa
	s_mov_b32 s21, 0x3fe0d888
	v_mul_f64 v[93:94], v[81:82], s[8:9]
	s_mov_b32 s23, 0xbfe0d888
	s_mov_b32 s22, s20
	v_add_f64 v[64:65], v[54:55], -v[18:19]
	s_mov_b32 s24, 0x75d4884
	s_mov_b32 s34, 0x2a9d6da3
	s_mov_b32 s25, 0x3fe7a5f6
	s_mov_b32 s35, 0xbfe58eea
	s_mov_b32 s31, 0x3fe58eea
	v_mul_f64 v[108:109], v[79:80], s[18:19]
	s_mov_b32 s30, s34
	s_mov_b32 s26, 0x6ed5f1bb
	v_add_f64 v[66:67], v[66:67], v[58:59]
	v_add_f64 v[91:92], v[77:78], v[56:57]
	v_mul_f64 v[99:100], v[75:76], s[16:17]
	v_fma_f64 v[101:102], v[89:90], s[4:5], v[83:84]
	v_fma_f64 v[103:104], v[87:88], s[0:1], v[85:86]
	v_add_f64 v[77:78], v[54:55], v[18:19]
	v_add_f64 v[58:59], v[56:57], -v[12:13]
	v_add_f64 v[56:57], v[56:57], v[12:13]
	v_fma_f64 v[110:111], v[89:90], s[6:7], v[83:84]
	v_mul_f64 v[112:113], v[73:74], s[22:23]
	v_fma_f64 v[114:115], v[87:88], s[0:1], -v[85:86]
	v_fma_f64 v[116:117], v[62:63], s[14:15], v[93:94]
	v_add_f64 v[85:86], v[52:53], -v[16:17]
	v_add_f64 v[83:84], v[52:53], v[16:17]
	v_mul_f64 v[124:125], v[64:65], s[30:31]
	v_fma_f64 v[126:127], v[62:63], s[16:17], v[93:94]
	s_mov_b32 s28, 0x6c9a05f6
	s_mov_b32 s27, 0xbfe348c8
	s_mov_b32 s29, 0x3fe9895b
	s_mov_b32 s39, 0xbfe9895b
	s_mov_b32 s38, s28
	v_add_f64 v[93:94], v[48:49], -v[20:21]
	v_add_f64 v[105:106], v[66:67], v[54:55]
	v_add_f64 v[91:92], v[91:92], v[52:53]
	v_fma_f64 v[118:119], v[60:61], s[8:9], v[99:100]
	v_add_f64 v[101:102], v[2:3], v[101:102]
	v_add_f64 v[103:104], v[0:1], v[103:104]
	;; [unrolled: 1-line block ×3, first 2 shown]
	v_add_f64 v[54:55], v[50:51], -v[22:23]
	v_mul_f64 v[122:123], v[77:78], s[24:25]
	v_add_f64 v[110:111], v[2:3], v[110:111]
	v_fma_f64 v[99:100], v[60:61], s[8:9], -v[99:100]
	v_add_f64 v[114:115], v[0:1], v[114:115]
	v_fma_f64 v[128:129], v[58:59], s[20:21], v[108:109]
	v_fma_f64 v[130:131], v[56:57], s[18:19], v[112:113]
	v_add_f64 v[52:53], v[46:47], v[26:27]
	v_fma_f64 v[108:109], v[58:59], s[22:23], v[108:109]
	v_fma_f64 v[112:113], v[56:57], s[18:19], -v[112:113]
	v_fma_f64 v[132:133], v[83:84], s[24:25], v[124:125]
	s_mov_b32 s36, 0x2b2883cd
	s_mov_b32 s40, 0x7c9e640b
	;; [unrolled: 1-line block ×5, first 2 shown]
	v_add_f64 v[105:106], v[105:106], v[50:51]
	v_add_f64 v[120:121], v[91:92], v[48:49]
	v_add_f64 v[50:51], v[46:47], -v[26:27]
	v_add_f64 v[101:102], v[116:117], v[101:102]
	v_add_f64 v[103:104], v[118:119], v[103:104]
	;; [unrolled: 1-line block ×3, first 2 shown]
	v_mul_f64 v[118:119], v[66:67], s[26:27]
	s_mov_b32 s42, s40
	v_add_f64 v[110:111], v[126:127], v[110:111]
	v_fma_f64 v[126:127], v[85:86], s[34:35], v[122:123]
	v_add_f64 v[114:115], v[99:100], v[114:115]
	v_add_f64 v[48:49], v[42:43], v[30:31]
	;; [unrolled: 1-line block ×3, first 2 shown]
	v_mul_f64 v[134:135], v[52:53], s[36:37]
	v_fma_f64 v[122:123], v[85:86], s[30:31], v[122:123]
	s_mov_b32 s44, 0xc61f0d01
	s_mov_b32 s50, 0x923c349f
	;; [unrolled: 1-line block ×7, first 2 shown]
	v_add_f64 v[105:106], v[105:106], v[46:47]
	v_add_f64 v[116:117], v[120:121], v[44:45]
	v_mul_f64 v[120:121], v[54:55], s[38:39]
	v_add_f64 v[128:129], v[128:129], v[101:102]
	v_add_f64 v[103:104], v[130:131], v[103:104]
	v_add_f64 v[46:47], v[42:43], -v[30:31]
	v_add_f64 v[101:102], v[44:45], -v[24:25]
	v_mul_f64 v[136:137], v[50:51], s[42:43]
	v_add_f64 v[108:109], v[108:109], v[110:111]
	v_fma_f64 v[110:111], v[83:84], s[24:25], -v[124:125]
	v_add_f64 v[112:113], v[112:113], v[114:115]
	v_fma_f64 v[114:115], v[93:94], s[28:29], v[118:119]
	v_add_f64 v[44:45], v[38:39], v[34:35]
	v_fma_f64 v[118:119], v[93:94], s[38:39], v[118:119]
	s_mov_b32 s49, 0x3fb79ee6
	v_mul_f64 v[138:139], v[81:82], s[36:37]
	v_mul_f64 v[140:141], v[97:98], s[26:27]
	s_mov_b32 s52, 0xeb564b22
	s_mov_b32 s53, 0xbfefdd0d
	;; [unrolled: 1-line block ×4, first 2 shown]
	v_mul_f64 v[146:147], v[81:82], s[44:45]
	v_add_f64 v[130:131], v[105:106], v[42:43]
	v_add_f64 v[116:117], v[116:117], v[40:41]
	v_fma_f64 v[124:125], v[91:92], s[26:27], v[120:121]
	v_add_f64 v[126:127], v[126:127], v[128:129]
	v_add_f64 v[128:129], v[132:133], v[103:104]
	v_add_f64 v[42:43], v[38:39], -v[34:35]
	v_add_f64 v[105:106], v[40:41], -v[28:29]
	v_add_f64 v[103:104], v[40:41], v[28:29]
	v_mul_f64 v[132:133], v[46:47], s[46:47]
	v_add_f64 v[108:109], v[122:123], v[108:109]
	v_fma_f64 v[120:121], v[91:92], s[26:27], -v[120:121]
	v_add_f64 v[110:111], v[110:111], v[112:113]
	v_fma_f64 v[112:113], v[101:102], s[40:41], v[134:135]
	v_fma_f64 v[122:123], v[99:100], s[36:37], v[136:137]
	v_add_f64 v[40:41], v[36:37], -v[32:33]
	v_fma_f64 v[134:135], v[101:102], s[42:43], v[134:135]
	v_fma_f64 v[152:153], v[89:90], s[28:29], v[140:141]
	v_mul_f64 v[150:151], v[77:78], s[26:27]
	v_fma_f64 v[140:141], v[89:90], s[38:39], v[140:141]
	v_fma_f64 v[160:161], v[62:63], s[46:47], v[146:147]
	v_add_f64 v[38:39], v[130:131], v[38:39]
	v_add_f64 v[116:117], v[116:117], v[36:37]
	v_mul_f64 v[130:131], v[48:49], s[44:45]
	v_add_f64 v[114:115], v[114:115], v[126:127]
	v_add_f64 v[124:125], v[124:125], v[128:129]
	v_mul_f64 v[126:127], v[97:98], s[18:19]
	v_mul_f64 v[128:129], v[95:96], s[22:23]
	v_add_f64 v[36:37], v[36:37], v[32:33]
	v_fma_f64 v[142:143], v[103:104], s[44:45], v[132:133]
	v_add_f64 v[108:109], v[118:119], v[108:109]
	v_fma_f64 v[118:119], v[99:100], s[36:37], -v[136:137]
	v_add_f64 v[110:111], v[120:121], v[110:111]
	v_mul_f64 v[120:121], v[75:76], s[42:43]
	v_fma_f64 v[132:133], v[103:104], s[44:45], -v[132:133]
	v_add_f64 v[152:153], v[2:3], v[152:153]
	v_add_f64 v[140:141], v[2:3], v[140:141]
	;; [unrolled: 1-line block ×4, first 2 shown]
	v_mul_f64 v[38:39], v[44:45], s[48:49]
	v_fma_f64 v[136:137], v[105:106], s[50:51], v[130:131]
	v_add_f64 v[112:113], v[112:113], v[114:115]
	v_add_f64 v[114:115], v[122:123], v[124:125]
	v_fma_f64 v[144:145], v[89:90], s[20:21], v[126:127]
	v_fma_f64 v[148:149], v[87:88], s[18:19], v[128:129]
	;; [unrolled: 1-line block ×3, first 2 shown]
	v_mul_f64 v[116:117], v[42:43], s[54:55]
	v_mul_f64 v[122:123], v[79:80], s[48:49]
	;; [unrolled: 1-line block ×3, first 2 shown]
	v_fma_f64 v[128:129], v[87:88], s[18:19], -v[128:129]
	v_fma_f64 v[130:131], v[105:106], s[46:47], v[130:131]
	v_add_f64 v[108:109], v[134:135], v[108:109]
	v_add_f64 v[110:111], v[118:119], v[110:111]
	v_fma_f64 v[156:157], v[60:61], s[36:37], v[120:121]
	v_mul_f64 v[118:119], v[75:76], s[50:51]
	v_fma_f64 v[120:121], v[60:61], s[36:37], -v[120:121]
	v_add_f64 v[152:153], v[160:161], v[152:153]
	v_mul_f64 v[160:161], v[48:49], s[24:25]
	v_add_f64 v[30:31], v[34:35], v[30:31]
	v_add_f64 v[28:29], v[32:33], v[28:29]
	v_mul_f64 v[32:33], v[95:96], s[38:39]
	v_fma_f64 v[134:135], v[40:41], s[52:53], v[38:39]
	v_add_f64 v[112:113], v[136:137], v[112:113]
	v_add_f64 v[114:115], v[142:143], v[114:115]
	v_fma_f64 v[142:143], v[62:63], s[40:41], v[138:139]
	v_add_f64 v[144:145], v[2:3], v[144:145]
	v_add_f64 v[148:149], v[0:1], v[148:149]
	v_fma_f64 v[138:139], v[62:63], s[42:43], v[138:139]
	v_add_f64 v[126:127], v[2:3], v[126:127]
	v_mul_f64 v[34:35], v[64:65], s[28:29]
	v_fma_f64 v[154:155], v[36:37], s[48:49], v[116:117]
	v_mul_f64 v[136:137], v[79:80], s[8:9]
	v_add_f64 v[128:129], v[0:1], v[128:129]
	v_add_f64 v[108:109], v[130:131], v[108:109]
	v_add_f64 v[110:111], v[132:133], v[110:111]
	v_fma_f64 v[38:39], v[40:41], s[54:55], v[38:39]
	v_fma_f64 v[116:117], v[36:37], s[48:49], -v[116:117]
	v_mul_f64 v[130:131], v[66:67], s[8:9]
	v_mul_f64 v[132:133], v[54:55], s[14:15]
	v_add_f64 v[30:31], v[30:31], v[26:27]
	v_add_f64 v[28:29], v[28:29], v[24:25]
	v_fma_f64 v[158:159], v[87:88], s[26:27], v[32:33]
	v_fma_f64 v[32:33], v[87:88], s[26:27], -v[32:33]
	v_add_f64 v[26:27], v[134:135], v[112:113]
	v_mul_f64 v[112:113], v[52:53], s[0:1]
	v_add_f64 v[134:135], v[142:143], v[144:145]
	v_fma_f64 v[142:143], v[58:59], s[54:55], v[122:123]
	v_add_f64 v[144:145], v[156:157], v[148:149]
	v_fma_f64 v[148:149], v[56:57], s[48:49], v[124:125]
	;; [unrolled: 2-line block ×3, first 2 shown]
	v_add_f64 v[24:25], v[154:155], v[114:115]
	v_mul_f64 v[114:115], v[73:74], s[14:15]
	v_fma_f64 v[138:139], v[60:61], s[44:45], v[118:119]
	v_add_f64 v[120:121], v[120:121], v[128:129]
	v_mul_f64 v[128:129], v[77:78], s[18:19]
	v_fma_f64 v[124:125], v[56:57], s[48:49], -v[124:125]
	v_fma_f64 v[156:157], v[58:59], s[16:17], v[136:137]
	v_fma_f64 v[136:137], v[58:59], s[14:15], v[136:137]
	v_add_f64 v[30:31], v[30:31], v[22:23]
	v_add_f64 v[28:29], v[28:29], v[20:21]
	;; [unrolled: 1-line block ×5, first 2 shown]
	v_fma_f64 v[108:109], v[85:86], s[38:39], v[150:151]
	v_fma_f64 v[116:117], v[83:84], s[26:27], v[34:35]
	v_mul_f64 v[38:39], v[97:98], s[44:45]
	v_add_f64 v[110:111], v[142:143], v[134:135]
	v_fma_f64 v[142:143], v[62:63], s[50:51], v[146:147]
	v_add_f64 v[134:135], v[148:149], v[144:145]
	v_fma_f64 v[148:149], v[85:86], s[28:29], v[150:151]
	v_add_f64 v[122:123], v[122:123], v[126:127]
	v_mul_f64 v[158:159], v[50:51], s[6:7]
	v_mul_f64 v[144:145], v[64:65], s[22:23]
	v_fma_f64 v[146:147], v[56:57], s[8:9], v[114:115]
	v_mul_f64 v[126:127], v[66:67], s[48:49]
	v_fma_f64 v[34:35], v[83:84], s[26:27], -v[34:35]
	v_add_f64 v[120:121], v[124:125], v[120:121]
	v_add_f64 v[150:151], v[156:157], v[152:153]
	v_fma_f64 v[152:153], v[85:86], s[20:21], v[128:129]
	v_add_f64 v[32:33], v[0:1], v[32:33]
	v_add_f64 v[18:19], v[30:31], v[18:19]
	;; [unrolled: 1-line block ×4, first 2 shown]
	v_fma_f64 v[28:29], v[60:61], s[44:45], -v[118:119]
	v_fma_f64 v[118:119], v[91:92], s[8:9], v[132:133]
	v_mul_f64 v[30:31], v[81:82], s[18:19]
	v_mul_f64 v[124:125], v[46:47], s[30:31]
	;; [unrolled: 1-line block ×3, first 2 shown]
	v_add_f64 v[108:109], v[108:109], v[110:111]
	v_fma_f64 v[110:111], v[93:94], s[16:17], v[130:131]
	v_add_f64 v[116:117], v[116:117], v[134:135]
	v_add_f64 v[134:135], v[142:143], v[140:141]
	v_fma_f64 v[140:141], v[89:90], s[50:51], v[38:39]
	v_fma_f64 v[130:131], v[93:94], s[14:15], v[130:131]
	v_add_f64 v[122:123], v[148:149], v[122:123]
	v_mul_f64 v[142:143], v[52:53], s[24:25]
	v_fma_f64 v[132:133], v[91:92], s[8:9], -v[132:133]
	v_fma_f64 v[114:115], v[56:57], s[8:9], -v[114:115]
	v_add_f64 v[34:35], v[34:35], v[120:121]
	v_fma_f64 v[120:121], v[83:84], s[18:19], v[144:145]
	v_add_f64 v[148:149], v[152:153], v[150:151]
	v_fma_f64 v[150:151], v[93:94], s[52:53], v[126:127]
	v_add_f64 v[14:15], v[18:19], v[14:15]
	v_add_f64 v[12:13], v[16:17], v[12:13]
	;; [unrolled: 1-line block ×4, first 2 shown]
	v_fma_f64 v[28:29], v[101:102], s[4:5], v[112:113]
	v_fma_f64 v[128:129], v[85:86], s[22:23], v[128:129]
	;; [unrolled: 1-line block ×3, first 2 shown]
	v_mul_f64 v[146:147], v[44:45], s[44:45]
	v_mul_f64 v[16:17], v[79:80], s[24:25]
	v_add_f64 v[108:109], v[110:111], v[108:109]
	v_fma_f64 v[110:111], v[99:100], s[0:1], v[158:159]
	v_add_f64 v[116:117], v[118:119], v[116:117]
	v_add_f64 v[134:135], v[136:137], v[134:135]
	v_mul_f64 v[136:137], v[95:96], s[46:47]
	v_fma_f64 v[118:119], v[62:63], s[22:23], v[30:31]
	v_add_f64 v[140:141], v[2:3], v[140:141]
	v_add_f64 v[122:123], v[130:131], v[122:123]
	v_mul_f64 v[18:19], v[42:43], s[46:47]
	v_mul_f64 v[130:131], v[50:51], s[34:35]
	v_add_f64 v[34:35], v[132:133], v[34:35]
	v_fma_f64 v[132:133], v[91:92], s[48:49], v[154:155]
	v_fma_f64 v[152:153], v[99:100], s[0:1], -v[158:159]
	v_add_f64 v[148:149], v[150:151], v[148:149]
	v_fma_f64 v[150:151], v[101:102], s[30:31], v[142:143]
	v_add_f64 v[120:121], v[120:121], v[138:139]
	v_mul_f64 v[138:139], v[48:49], s[0:1]
	v_add_f64 v[10:11], v[14:15], v[10:11]
	v_add_f64 v[8:9], v[12:13], v[8:9]
	v_fma_f64 v[12:13], v[105:106], s[34:35], v[160:161]
	v_add_f64 v[32:33], v[114:115], v[32:33]
	v_fma_f64 v[38:39], v[89:90], s[46:47], v[38:39]
	v_add_f64 v[14:15], v[28:29], v[108:109]
	v_mul_f64 v[156:157], v[77:78], s[36:37]
	v_add_f64 v[110:111], v[110:111], v[116:117]
	v_fma_f64 v[116:117], v[103:104], s[24:25], v[124:125]
	v_fma_f64 v[114:115], v[87:88], s[44:45], v[136:137]
	v_add_f64 v[128:129], v[128:129], v[134:135]
	v_mul_f64 v[134:135], v[75:76], s[20:21]
	v_add_f64 v[118:119], v[118:119], v[140:141]
	v_add_f64 v[112:113], v[112:113], v[122:123]
	v_fma_f64 v[140:141], v[83:84], s[18:19], -v[144:145]
	v_fma_f64 v[144:145], v[105:106], s[30:31], v[160:161]
	v_mul_f64 v[108:109], v[46:47], s[6:7]
	v_mul_f64 v[122:123], v[97:98], s[48:49]
	v_add_f64 v[34:35], v[152:153], v[34:35]
	v_fma_f64 v[152:153], v[58:59], s[34:35], v[16:17]
	v_add_f64 v[120:121], v[132:133], v[120:121]
	v_fma_f64 v[132:133], v[99:100], s[24:25], v[130:131]
	;; [unrolled: 2-line block ×3, first 2 shown]
	v_fma_f64 v[136:137], v[87:88], s[44:45], -v[136:137]
	v_fma_f64 v[124:125], v[103:104], s[24:25], -v[124:125]
	v_mul_f64 v[160:161], v[73:74], s[30:31]
	v_add_f64 v[12:13], v[12:13], v[14:15]
	v_fma_f64 v[14:15], v[36:37], s[44:45], v[18:19]
	v_add_f64 v[38:39], v[2:3], v[38:39]
	v_add_f64 v[110:111], v[116:117], v[110:111]
	v_fma_f64 v[116:117], v[105:106], s[4:5], v[138:139]
	v_add_f64 v[114:115], v[0:1], v[114:115]
	v_fma_f64 v[158:159], v[60:61], s[18:19], v[134:135]
	v_mul_f64 v[28:29], v[44:45], s[36:37]
	v_add_f64 v[6:7], v[10:11], v[6:7]
	v_add_f64 v[4:5], v[8:9], v[4:5]
	v_add_f64 v[112:113], v[144:145], v[112:113]
	v_fma_f64 v[144:145], v[62:63], s[20:21], v[30:31]
	v_fma_f64 v[126:127], v[93:94], s[54:55], v[126:127]
	v_fma_f64 v[154:155], v[91:92], s[48:49], -v[154:155]
	v_add_f64 v[32:33], v[140:141], v[32:33]
	v_fma_f64 v[140:141], v[40:41], s[46:47], v[146:147]
	v_add_f64 v[120:121], v[132:133], v[120:121]
	v_fma_f64 v[132:133], v[103:104], s[0:1], v[108:109]
	v_mul_f64 v[30:31], v[42:43], s[42:43]
	v_fma_f64 v[134:135], v[60:61], s[18:19], -v[134:135]
	v_add_f64 v[136:137], v[0:1], v[136:137]
	v_add_f64 v[118:119], v[152:153], v[118:119]
	v_fma_f64 v[146:147], v[89:90], s[54:55], v[122:123]
	v_mul_f64 v[152:153], v[81:82], s[0:1]
	v_add_f64 v[34:35], v[124:125], v[34:35]
	v_fma_f64 v[18:19], v[36:37], s[44:45], -v[18:19]
	v_mul_f64 v[124:125], v[95:96], s[52:53]
	v_add_f64 v[10:11], v[150:151], v[12:13]
	v_add_f64 v[8:9], v[14:15], v[110:111]
	v_fma_f64 v[110:111], v[85:86], s[42:43], v[156:157]
	v_add_f64 v[114:115], v[158:159], v[114:115]
	v_fma_f64 v[150:151], v[56:57], s[24:25], v[160:161]
	v_mul_f64 v[158:159], v[64:65], s[40:41]
	v_add_f64 v[116:117], v[116:117], v[148:149]
	v_mul_f64 v[148:149], v[66:67], s[0:1]
	v_add_f64 v[38:39], v[144:145], v[38:39]
	v_fma_f64 v[16:17], v[58:59], s[30:31], v[16:17]
	v_add_f64 v[126:127], v[126:127], v[128:129]
	v_fma_f64 v[128:129], v[40:41], s[40:41], v[28:29]
	v_add_f64 v[14:15], v[140:141], v[112:113]
	v_add_f64 v[112:113], v[132:133], v[120:121]
	v_fma_f64 v[120:121], v[36:37], s[36:37], v[30:31]
	v_add_f64 v[132:133], v[134:135], v[136:137]
	v_fma_f64 v[134:135], v[56:57], s[24:25], -v[160:161]
	v_add_f64 v[136:137], v[2:3], v[146:147]
	v_fma_f64 v[140:141], v[62:63], s[4:5], v[152:153]
	v_mul_f64 v[144:145], v[79:80], s[44:45]
	v_add_f64 v[12:13], v[18:19], v[34:35]
	v_fma_f64 v[34:35], v[87:88], s[48:49], v[124:125]
	v_mul_f64 v[146:147], v[75:76], s[6:7]
	v_fma_f64 v[142:143], v[101:102], s[34:35], v[142:143]
	v_add_f64 v[32:33], v[154:155], v[32:33]
	v_mul_f64 v[154:155], v[54:55], s[6:7]
	v_add_f64 v[114:115], v[150:151], v[114:115]
	v_fma_f64 v[150:151], v[83:84], s[36:37], v[158:159]
	v_add_f64 v[110:111], v[110:111], v[118:119]
	v_fma_f64 v[118:119], v[93:94], s[4:5], v[148:149]
	v_mul_f64 v[160:161], v[52:53], s[48:49]
	v_add_f64 v[38:39], v[16:17], v[38:39]
	v_fma_f64 v[156:157], v[85:86], s[40:41], v[156:157]
	v_fma_f64 v[130:131], v[99:100], s[24:25], -v[130:131]
	v_add_f64 v[18:19], v[128:129], v[116:117]
	v_fma_f64 v[116:117], v[83:84], s[36:37], -v[158:159]
	v_add_f64 v[16:17], v[120:121], v[112:113]
	v_fma_f64 v[138:139], v[105:106], s[6:7], v[138:139]
	v_add_f64 v[112:113], v[134:135], v[132:133]
	v_mul_f64 v[132:133], v[77:78], s[8:9]
	v_add_f64 v[120:121], v[140:141], v[136:137]
	v_fma_f64 v[128:129], v[58:59], s[46:47], v[144:145]
	v_mul_f64 v[136:137], v[73:74], s[50:51]
	v_add_f64 v[34:35], v[0:1], v[34:35]
	v_fma_f64 v[134:135], v[60:61], s[0:1], v[146:147]
	v_add_f64 v[126:127], v[142:143], v[126:127]
	v_fma_f64 v[122:123], v[89:90], s[52:53], v[122:123]
	v_fma_f64 v[140:141], v[91:92], s[0:1], v[154:155]
	v_mul_f64 v[142:143], v[50:51], s[54:55]
	v_add_f64 v[114:115], v[150:151], v[114:115]
	v_fma_f64 v[124:125], v[87:88], s[48:49], -v[124:125]
	v_add_f64 v[110:111], v[118:119], v[110:111]
	v_fma_f64 v[118:119], v[101:102], s[52:53], v[160:161]
	v_fma_f64 v[148:149], v[93:94], s[6:7], v[148:149]
	v_add_f64 v[38:39], v[156:157], v[38:39]
	v_mul_f64 v[150:151], v[48:49], s[8:9]
	v_add_f64 v[130:131], v[130:131], v[32:33]
	v_mul_f64 v[156:157], v[64:65], s[16:17]
	v_fma_f64 v[152:153], v[62:63], s[6:7], v[152:153]
	v_fma_f64 v[108:109], v[103:104], s[0:1], -v[108:109]
	v_add_f64 v[112:113], v[116:117], v[112:113]
	v_fma_f64 v[116:117], v[91:92], s[0:1], -v[154:155]
	v_mul_f64 v[154:155], v[66:67], s[36:37]
	v_add_f64 v[120:121], v[128:129], v[120:121]
	v_fma_f64 v[128:129], v[85:86], s[14:15], v[132:133]
	v_fma_f64 v[144:145], v[58:59], s[50:51], v[144:145]
	v_add_f64 v[34:35], v[134:135], v[34:35]
	v_fma_f64 v[134:135], v[56:57], s[44:45], v[136:137]
	v_add_f64 v[122:123], v[2:3], v[122:123]
	v_add_f64 v[32:33], v[138:139], v[126:127]
	v_fma_f64 v[126:127], v[99:100], s[48:49], v[142:143]
	v_add_f64 v[114:115], v[140:141], v[114:115]
	v_mul_f64 v[138:139], v[46:47], s[14:15]
	v_fma_f64 v[140:141], v[60:61], s[0:1], -v[146:147]
	v_add_f64 v[124:125], v[0:1], v[124:125]
	v_add_f64 v[110:111], v[118:119], v[110:111]
	v_mul_f64 v[118:119], v[97:98], s[36:37]
	v_add_f64 v[146:147], v[148:149], v[38:39]
	v_fma_f64 v[38:39], v[105:106], s[16:17], v[150:151]
	v_fma_f64 v[148:149], v[101:102], s[54:55], v[160:161]
	;; [unrolled: 1-line block ×3, first 2 shown]
	v_fma_f64 v[136:137], v[56:57], s[44:45], -v[136:137]
	v_fma_f64 v[132:133], v[85:86], s[16:17], v[132:133]
	v_add_f64 v[112:113], v[116:117], v[112:113]
	v_fma_f64 v[116:117], v[99:100], s[48:49], -v[142:143]
	v_mul_f64 v[142:143], v[52:53], s[18:19]
	v_add_f64 v[120:121], v[128:129], v[120:121]
	v_fma_f64 v[128:129], v[93:94], s[42:43], v[154:155]
	v_fma_f64 v[154:155], v[93:94], s[40:41], v[154:155]
	v_add_f64 v[134:135], v[134:135], v[34:35]
	v_add_f64 v[122:123], v[152:153], v[122:123]
	v_mul_f64 v[152:153], v[54:55], s[40:41]
	v_add_f64 v[34:35], v[108:109], v[130:131]
	v_add_f64 v[114:115], v[126:127], v[114:115]
	v_fma_f64 v[126:127], v[103:104], s[8:9], v[138:139]
	v_mul_f64 v[130:131], v[81:82], s[26:27]
	v_add_f64 v[124:125], v[140:141], v[124:125]
	v_fma_f64 v[138:139], v[103:104], s[8:9], -v[138:139]
	v_fma_f64 v[108:109], v[89:90], s[42:43], v[118:119]
	v_fma_f64 v[118:119], v[89:90], s[40:41], v[118:119]
	v_add_f64 v[38:39], v[38:39], v[110:111]
	v_mul_f64 v[110:111], v[95:96], s[40:41]
	v_add_f64 v[140:141], v[148:149], v[146:147]
	v_fma_f64 v[146:147], v[105:106], s[14:15], v[150:151]
	v_mul_f64 v[148:149], v[79:80], s[0:1]
	v_fma_f64 v[28:29], v[40:41], s[42:43], v[28:29]
	v_add_f64 v[112:113], v[116:117], v[112:113]
	v_add_f64 v[116:117], v[128:129], v[120:121]
	v_fma_f64 v[120:121], v[101:102], s[20:21], v[142:143]
	v_add_f64 v[128:129], v[158:159], v[134:135]
	v_add_f64 v[122:123], v[144:145], v[122:123]
	v_fma_f64 v[134:135], v[91:92], s[36:37], v[152:153]
	v_mul_f64 v[144:145], v[50:51], s[22:23]
	v_fma_f64 v[142:143], v[101:102], s[22:23], v[142:143]
	v_add_f64 v[114:115], v[126:127], v[114:115]
	v_fma_f64 v[126:127], v[83:84], s[8:9], -v[156:157]
	v_add_f64 v[124:125], v[136:137], v[124:125]
	v_fma_f64 v[136:137], v[62:63], s[28:29], v[130:131]
	v_add_f64 v[108:109], v[2:3], v[108:109]
	v_mul_f64 v[156:157], v[75:76], s[38:39]
	v_fma_f64 v[130:131], v[62:63], s[38:39], v[130:131]
	v_fma_f64 v[150:151], v[87:88], s[36:37], v[110:111]
	v_add_f64 v[118:119], v[2:3], v[118:119]
	v_fma_f64 v[110:111], v[87:88], s[36:37], -v[110:111]
	v_add_f64 v[140:141], v[146:147], v[140:141]
	v_mul_f64 v[146:147], v[77:78], s[44:45]
	v_add_f64 v[112:113], v[138:139], v[112:113]
	v_mul_f64 v[138:139], v[95:96], s[34:35]
	v_mul_f64 v[95:96], v[95:96], s[14:15]
	v_add_f64 v[116:117], v[120:121], v[116:117]
	v_mul_f64 v[120:121], v[48:49], s[26:27]
	v_add_f64 v[122:123], v[132:133], v[122:123]
	v_add_f64 v[128:129], v[134:135], v[128:129]
	v_fma_f64 v[134:135], v[99:100], s[18:19], v[144:145]
	v_mul_f64 v[132:133], v[46:47], s[28:29]
	v_fma_f64 v[144:145], v[99:100], s[18:19], -v[144:145]
	v_add_f64 v[124:125], v[126:127], v[124:125]
	v_fma_f64 v[126:127], v[91:92], s[36:37], -v[152:153]
	v_add_f64 v[108:109], v[136:137], v[108:109]
	v_fma_f64 v[136:137], v[58:59], s[6:7], v[148:149]
	v_fma_f64 v[152:153], v[60:61], s[26:27], v[156:157]
	v_add_f64 v[150:151], v[0:1], v[150:151]
	v_add_f64 v[118:119], v[130:131], v[118:119]
	v_mul_f64 v[130:131], v[73:74], s[4:5]
	v_fma_f64 v[148:149], v[58:59], s[4:5], v[148:149]
	v_fma_f64 v[156:157], v[60:61], s[26:27], -v[156:157]
	v_add_f64 v[110:111], v[0:1], v[110:111]
	v_add_f64 v[122:123], v[154:155], v[122:123]
	;; [unrolled: 1-line block ×3, first 2 shown]
	v_fma_f64 v[134:135], v[105:106], s[38:39], v[120:121]
	v_fma_f64 v[154:155], v[103:104], s[26:27], v[132:133]
	;; [unrolled: 1-line block ×3, first 2 shown]
	v_add_f64 v[124:125], v[126:127], v[124:125]
	v_fma_f64 v[126:127], v[85:86], s[46:47], v[146:147]
	v_add_f64 v[108:109], v[136:137], v[108:109]
	v_mul_f64 v[136:137], v[66:67], s[24:25]
	v_add_f64 v[150:151], v[152:153], v[150:151]
	v_fma_f64 v[146:147], v[85:86], s[50:51], v[146:147]
	v_fma_f64 v[152:153], v[56:57], s[0:1], v[130:131]
	v_add_f64 v[118:119], v[148:149], v[118:119]
	v_mul_f64 v[148:149], v[64:65], s[50:51]
	v_add_f64 v[110:111], v[156:157], v[110:111]
	v_mul_f64 v[156:157], v[97:98], s[24:25]
	v_fma_f64 v[130:131], v[56:57], s[0:1], -v[130:131]
	v_mul_f64 v[97:98], v[97:98], s[8:9]
	v_add_f64 v[122:123], v[142:143], v[122:123]
	v_add_f64 v[116:117], v[134:135], v[116:117]
	v_mul_f64 v[134:135], v[52:53], s[8:9]
	v_add_f64 v[128:129], v[154:155], v[128:129]
	v_add_f64 v[124:125], v[144:145], v[124:125]
	;; [unrolled: 1-line block ×3, first 2 shown]
	v_fma_f64 v[126:127], v[93:94], s[34:35], v[136:137]
	v_fma_f64 v[136:137], v[93:94], s[30:31], v[136:137]
	v_add_f64 v[142:143], v[152:153], v[150:151]
	v_add_f64 v[118:119], v[146:147], v[118:119]
	v_fma_f64 v[144:145], v[83:84], s[44:45], v[148:149]
	v_mul_f64 v[152:153], v[81:82], s[48:49]
	v_fma_f64 v[146:147], v[89:90], s[30:31], v[156:157]
	v_mul_f64 v[150:151], v[54:55], s[30:31]
	v_add_f64 v[110:111], v[130:131], v[110:111]
	v_fma_f64 v[130:131], v[83:84], s[44:45], -v[148:149]
	v_fma_f64 v[148:149], v[87:88], s[24:25], v[138:139]
	v_fma_f64 v[154:155], v[89:90], s[34:35], v[156:157]
	v_fma_f64 v[138:139], v[87:88], s[24:25], -v[138:139]
	v_fma_f64 v[156:157], v[89:90], s[16:17], v[97:98]
	v_fma_f64 v[89:90], v[89:90], s[14:15], v[97:98]
	;; [unrolled: 1-line block ×3, first 2 shown]
	v_fma_f64 v[87:88], v[87:88], s[8:9], -v[95:96]
	v_mul_f64 v[95:96], v[75:76], s[52:53]
	v_mul_f64 v[81:82], v[81:82], s[24:25]
	v_add_f64 v[120:121], v[120:121], v[122:123]
	v_fma_f64 v[122:123], v[101:102], s[16:17], v[134:135]
	v_add_f64 v[108:109], v[126:127], v[108:109]
	v_mul_f64 v[75:76], v[75:76], s[34:35]
	v_fma_f64 v[126:127], v[103:104], s[26:27], -v[132:133]
	v_fma_f64 v[134:135], v[101:102], s[14:15], v[134:135]
	v_add_f64 v[118:119], v[136:137], v[118:119]
	v_add_f64 v[132:133], v[144:145], v[142:143]
	v_fma_f64 v[144:145], v[62:63], s[54:55], v[152:153]
	v_add_f64 v[142:143], v[2:3], v[146:147]
	v_mul_f64 v[146:147], v[79:80], s[26:27]
	v_fma_f64 v[136:137], v[91:92], s[24:25], v[150:151]
	v_add_f64 v[110:111], v[130:131], v[110:111]
	v_add_f64 v[130:131], v[0:1], v[148:149]
	v_fma_f64 v[148:149], v[62:63], s[52:53], v[152:153]
	v_add_f64 v[152:153], v[2:3], v[154:155]
	v_add_f64 v[138:139], v[0:1], v[138:139]
	;; [unrolled: 1-line block ×5, first 2 shown]
	v_fma_f64 v[154:155], v[60:61], s[48:49], -v[95:96]
	v_add_f64 v[0:1], v[0:1], v[87:88]
	v_mul_f64 v[87:88], v[73:74], s[38:39]
	v_fma_f64 v[89:90], v[62:63], s[34:35], v[81:82]
	v_mul_f64 v[79:80], v[79:80], s[36:37]
	v_add_f64 v[108:109], v[122:123], v[108:109]
	v_fma_f64 v[122:123], v[60:61], s[24:25], -v[75:76]
	v_mul_f64 v[73:74], v[73:74], s[40:41]
	v_fma_f64 v[95:96], v[60:61], s[48:49], v[95:96]
	v_fma_f64 v[62:63], v[62:63], s[30:31], v[81:82]
	;; [unrolled: 1-line block ×3, first 2 shown]
	v_add_f64 v[142:143], v[144:145], v[142:143]
	v_fma_f64 v[144:145], v[58:59], s[28:29], v[146:147]
	v_add_f64 v[132:133], v[136:137], v[132:133]
	v_mul_f64 v[136:137], v[77:78], s[0:1]
	v_fma_f64 v[146:147], v[58:59], s[38:39], v[146:147]
	v_mul_f64 v[77:78], v[77:78], s[48:49]
	v_add_f64 v[148:149], v[148:149], v[152:153]
	v_mul_f64 v[152:153], v[64:65], s[6:7]
	v_mul_f64 v[64:65], v[64:65], s[52:53]
	v_fma_f64 v[150:151], v[91:92], s[24:25], -v[150:151]
	v_add_f64 v[118:119], v[134:135], v[118:119]
	v_add_f64 v[138:139], v[154:155], v[138:139]
	;; [unrolled: 1-line block ×3, first 2 shown]
	v_fma_f64 v[154:155], v[56:57], s[26:27], -v[87:88]
	v_add_f64 v[2:3], v[89:90], v[2:3]
	v_fma_f64 v[89:90], v[58:59], s[40:41], v[79:80]
	v_fma_f64 v[87:88], v[56:57], s[26:27], v[87:88]
	v_add_f64 v[0:1], v[122:123], v[0:1]
	v_fma_f64 v[75:76], v[56:57], s[36:37], -v[73:74]
	v_fma_f64 v[58:59], v[58:59], s[42:43], v[79:80]
	v_add_f64 v[62:63], v[62:63], v[156:157]
	v_fma_f64 v[56:57], v[56:57], s[36:37], v[73:74]
	v_add_f64 v[60:61], v[60:61], v[97:98]
	v_add_f64 v[134:135], v[144:145], v[142:143]
	v_fma_f64 v[142:143], v[36:37], s[36:37], -v[30:31]
	v_add_f64 v[30:31], v[95:96], v[130:131]
	v_fma_f64 v[122:123], v[85:86], s[4:5], v[136:137]
	v_mul_f64 v[144:145], v[66:67], s[18:19]
	v_add_f64 v[130:131], v[146:147], v[148:149]
	v_fma_f64 v[136:137], v[85:86], s[6:7], v[136:137]
	v_fma_f64 v[146:147], v[83:84], s[0:1], -v[152:153]
	v_fma_f64 v[79:80], v[85:86], s[52:53], v[77:78]
	v_mul_f64 v[66:67], v[66:67], s[44:45]
	v_add_f64 v[110:111], v[150:151], v[110:111]
	v_fma_f64 v[150:151], v[83:84], s[0:1], v[152:153]
	v_add_f64 v[138:139], v[154:155], v[138:139]
	v_fma_f64 v[77:78], v[85:86], s[54:55], v[77:78]
	v_add_f64 v[2:3], v[89:90], v[2:3]
	v_mul_f64 v[89:90], v[54:55], s[20:21]
	v_mul_f64 v[54:55], v[54:55], s[46:47]
	v_add_f64 v[0:1], v[75:76], v[0:1]
	v_fma_f64 v[75:76], v[83:84], s[48:49], -v[64:65]
	v_add_f64 v[58:59], v[58:59], v[62:63]
	v_fma_f64 v[64:65], v[83:84], s[48:49], v[64:65]
	v_add_f64 v[56:57], v[56:57], v[60:61]
	v_mul_f64 v[85:86], v[50:51], s[50:51]
	v_mul_f64 v[62:63], v[48:49], s[48:49]
	v_add_f64 v[30:31], v[87:88], v[30:31]
	v_mul_f64 v[87:88], v[50:51], s[14:15]
	v_add_f64 v[122:123], v[122:123], v[134:135]
	;; [unrolled: 2-line block ×3, first 2 shown]
	v_fma_f64 v[136:137], v[93:94], s[20:21], v[144:145]
	v_fma_f64 v[144:145], v[93:94], s[22:23], v[144:145]
	v_mul_f64 v[126:127], v[44:45], s[26:27]
	v_mul_f64 v[73:74], v[44:45], s[24:25]
	v_mul_f64 v[81:82], v[42:43], s[38:39]
	v_add_f64 v[134:135], v[146:147], v[138:139]
	v_mul_f64 v[146:147], v[52:53], s[44:45]
	v_add_f64 v[2:3], v[79:80], v[2:3]
	v_fma_f64 v[138:139], v[91:92], s[18:19], -v[89:90]
	v_fma_f64 v[79:80], v[93:94], s[46:47], v[66:67]
	v_mul_f64 v[52:53], v[52:53], s[26:27]
	v_add_f64 v[0:1], v[75:76], v[0:1]
	v_fma_f64 v[75:76], v[91:92], s[44:45], -v[54:55]
	v_fma_f64 v[89:90], v[91:92], s[18:19], v[89:90]
	v_fma_f64 v[66:67], v[93:94], s[50:51], v[66:67]
	v_add_f64 v[58:59], v[77:78], v[58:59]
	v_fma_f64 v[54:55], v[91:92], s[44:45], v[54:55]
	v_add_f64 v[30:31], v[150:151], v[30:31]
	v_add_f64 v[56:57], v[64:65], v[56:57]
	v_fma_f64 v[150:151], v[99:100], s[8:9], -v[87:88]
	v_mul_f64 v[91:92], v[46:47], s[42:43]
	v_fma_f64 v[93:94], v[99:100], s[44:45], -v[85:86]
	v_add_f64 v[130:131], v[136:137], v[130:131]
	v_mul_f64 v[136:137], v[46:47], s[52:53]
	v_mul_f64 v[46:47], v[46:47], s[22:23]
	v_fma_f64 v[87:88], v[99:100], s[8:9], v[87:88]
	v_fma_f64 v[77:78], v[105:106], s[54:55], v[62:63]
	;; [unrolled: 1-line block ×3, first 2 shown]
	v_add_f64 v[122:123], v[144:145], v[122:123]
	v_fma_f64 v[85:86], v[99:100], s[44:45], v[85:86]
	v_add_f64 v[134:135], v[138:139], v[134:135]
	v_mul_f64 v[138:139], v[48:49], s[36:37]
	v_add_f64 v[2:3], v[79:80], v[2:3]
	v_fma_f64 v[79:80], v[101:102], s[50:51], v[146:147]
	v_fma_f64 v[64:65], v[101:102], s[38:39], v[52:53]
	v_mul_f64 v[48:49], v[48:49], s[18:19]
	v_add_f64 v[0:1], v[75:76], v[0:1]
	v_fma_f64 v[75:76], v[99:100], s[26:27], -v[50:51]
	v_fma_f64 v[146:147], v[101:102], s[46:47], v[146:147]
	v_add_f64 v[30:31], v[89:90], v[30:31]
	v_fma_f64 v[52:53], v[101:102], s[28:29], v[52:53]
	v_add_f64 v[58:59], v[66:67], v[58:59]
	;; [unrolled: 2-line block ×3, first 2 shown]
	v_add_f64 v[110:111], v[150:151], v[110:111]
	v_mul_f64 v[150:151], v[44:45], s[18:19]
	v_mul_f64 v[89:90], v[44:45], s[8:9]
	v_fma_f64 v[66:67], v[103:104], s[18:19], -v[46:47]
	v_mul_f64 v[44:45], v[44:45], s[0:1]
	v_fma_f64 v[56:57], v[103:104], s[36:37], -v[91:92]
	v_mul_f64 v[99:100], v[42:43], s[16:17]
	v_mul_f64 v[97:98], v[42:43], s[30:31]
	v_add_f64 v[93:94], v[93:94], v[134:135]
	v_fma_f64 v[144:145], v[103:104], s[48:49], -v[136:137]
	v_add_f64 v[87:88], v[87:88], v[132:133]
	v_add_f64 v[79:80], v[79:80], v[130:131]
	v_fma_f64 v[130:131], v[105:106], s[42:43], v[138:139]
	v_add_f64 v[2:3], v[64:65], v[2:3]
	v_fma_f64 v[64:65], v[105:106], s[22:23], v[48:49]
	v_add_f64 v[0:1], v[75:76], v[0:1]
	v_mul_f64 v[75:76], v[42:43], s[6:7]
	v_mul_f64 v[42:43], v[42:43], s[22:23]
	v_fma_f64 v[101:102], v[103:104], s[48:49], v[136:137]
	v_add_f64 v[62:63], v[62:63], v[118:119]
	v_add_f64 v[118:119], v[146:147], v[122:123]
	v_fma_f64 v[122:123], v[105:106], s[40:41], v[138:139]
	v_add_f64 v[30:31], v[85:86], v[30:31]
	v_fma_f64 v[85:86], v[103:104], s[36:37], v[91:92]
	v_fma_f64 v[48:49], v[105:106], s[20:21], v[48:49]
	v_add_f64 v[52:53], v[52:53], v[58:59]
	v_fma_f64 v[46:47], v[103:104], s[18:19], v[46:47]
	v_add_f64 v[50:51], v[50:51], v[54:55]
	v_fma_f64 v[58:59], v[40:41], s[16:17], v[89:90]
	v_fma_f64 v[83:84], v[40:41], s[34:35], v[73:74]
	v_add_f64 v[56:57], v[56:57], v[93:94]
	v_fma_f64 v[93:94], v[36:37], s[8:9], -v[99:100]
	v_add_f64 v[91:92], v[144:145], v[110:111]
	v_fma_f64 v[110:111], v[40:41], s[22:23], v[150:151]
	v_add_f64 v[54:55], v[130:131], v[79:80]
	v_fma_f64 v[60:61], v[36:37], s[24:25], v[97:98]
	v_add_f64 v[64:65], v[64:65], v[2:3]
	v_add_f64 v[0:1], v[66:67], v[0:1]
	v_fma_f64 v[66:67], v[40:41], s[6:7], v[44:45]
	v_fma_f64 v[79:80], v[36:37], s[0:1], -v[75:76]
	v_fma_f64 v[103:104], v[36:37], s[18:19], -v[42:43]
	v_fma_f64 v[73:74], v[40:41], s[30:31], v[73:74]
	v_fma_f64 v[97:98], v[36:37], s[24:25], -v[97:98]
	v_fma_f64 v[95:96], v[40:41], s[28:29], v[126:127]
	v_fma_f64 v[148:149], v[36:37], s[26:27], v[81:82]
	;; [unrolled: 1-line block ×3, first 2 shown]
	v_fma_f64 v[81:82], v[36:37], s[26:27], -v[81:82]
	v_add_f64 v[77:78], v[77:78], v[108:109]
	v_add_f64 v[87:88], v[101:102], v[87:88]
	v_fma_f64 v[101:102], v[40:41], s[20:21], v[150:151]
	v_fma_f64 v[105:106], v[36:37], s[18:19], v[42:43]
	v_add_f64 v[108:109], v[122:123], v[118:119]
	v_add_f64 v[85:86], v[85:86], v[30:31]
	v_fma_f64 v[89:90], v[40:41], s[14:15], v[89:90]
	v_fma_f64 v[99:100], v[36:37], s[8:9], v[99:100]
	;; [unrolled: 1-line block ×3, first 2 shown]
	v_add_f64 v[122:123], v[48:49], v[52:53]
	v_fma_f64 v[75:76], v[36:37], s[0:1], v[75:76]
	v_add_f64 v[130:131], v[46:47], v[50:51]
	v_add_f64 v[50:51], v[58:59], v[54:55]
	;; [unrolled: 1-line block ×23, first 2 shown]
	v_lshl_add_u32 v73, v72, 8, v107
	ds_write_b128 v73, v[4:7]
	ds_write_b128 v73, v[52:55] offset:16
	ds_write_b128 v73, v[48:51] offset:32
	;; [unrolled: 1-line block ×16, first 2 shown]
.LBB0_21:
	s_or_b32 exec_lo, exec_lo, s33
	v_and_b32_e32 v0, 0xff, v72
	v_mov_b32_e32 v2, 9
	s_waitcnt lgkmcnt(0)
	s_barrier
	buffer_gl0_inv
	v_mul_lo_u16 v0, 0xf1, v0
	s_mov_b32 s4, 0x134454ff
	s_mov_b32 s5, 0x3fee6f0e
	;; [unrolled: 1-line block ×4, first 2 shown]
	v_lshrrev_b16 v0, 12, v0
	s_mov_b32 s6, 0x4755a5e
	s_mov_b32 s7, 0x3fe2cf23
	;; [unrolled: 1-line block ×4, first 2 shown]
	v_mul_lo_u16 v1, v0, 17
	s_mov_b32 s8, 0x372fe950
	s_mov_b32 s9, 0x3fd3c6ef
	;; [unrolled: 1-line block ×4, first 2 shown]
	v_sub_nc_u16 v1, v72, v1
	v_mov_b32_e32 v120, 0xaa0
	v_mul_u32_u24_e32 v121, 9, v72
	v_mul_u32_u24_sdwa v2, v1, v2 dst_sel:DWORD dst_unused:UNUSED_PAD src0_sel:BYTE_0 src1_sel:DWORD
	v_lshlrev_b32_e32 v34, 4, v2
	s_clause 0x8
	global_load_dwordx4 v[2:5], v34, s[12:13] offset:32
	global_load_dwordx4 v[6:9], v34, s[12:13] offset:64
	;; [unrolled: 1-line block ×4, first 2 shown]
	global_load_dwordx4 v[18:21], v34, s[12:13]
	global_load_dwordx4 v[22:25], v34, s[12:13] offset:16
	global_load_dwordx4 v[26:29], v34, s[12:13] offset:48
	;; [unrolled: 1-line block ×4, first 2 shown]
	ds_read_b128 v[38:41], v107 offset:8160
	ds_read_b128 v[42:45], v107 offset:13600
	;; [unrolled: 1-line block ×9, first 2 shown]
	s_waitcnt vmcnt(8) lgkmcnt(8)
	v_mul_f64 v[66:67], v[40:41], v[4:5]
	s_waitcnt vmcnt(7) lgkmcnt(7)
	v_mul_f64 v[81:82], v[44:45], v[8:9]
	v_mul_f64 v[8:9], v[42:43], v[8:9]
	s_waitcnt vmcnt(6) lgkmcnt(6)
	v_mul_f64 v[83:84], v[48:49], v[12:13]
	;; [unrolled: 3-line block ×3, first 2 shown]
	v_mul_f64 v[16:17], v[52:53], v[16:17]
	v_mul_f64 v[4:5], v[38:39], v[4:5]
	s_waitcnt vmcnt(4) lgkmcnt(4)
	v_mul_f64 v[87:88], v[56:57], v[20:21]
	v_mul_f64 v[20:21], v[54:55], v[20:21]
	s_waitcnt vmcnt(3) lgkmcnt(3)
	;; [unrolled: 3-line block ×5, first 2 shown]
	v_mul_f64 v[95:96], v[77:78], v[36:37]
	v_fma_f64 v[38:39], v[38:39], v[2:3], -v[66:67]
	v_fma_f64 v[42:43], v[42:43], v[6:7], -v[81:82]
	v_fma_f64 v[6:7], v[44:45], v[6:7], v[8:9]
	v_fma_f64 v[8:9], v[46:47], v[10:11], -v[83:84]
	v_fma_f64 v[10:11], v[48:49], v[10:11], v[12:13]
	v_fma_f64 v[12:13], v[52:53], v[14:15], v[85:86]
	v_fma_f64 v[14:15], v[50:51], v[14:15], -v[16:17]
	v_fma_f64 v[40:41], v[40:41], v[2:3], v[4:5]
	v_mul_f64 v[16:17], v[79:80], v[36:37]
	v_fma_f64 v[44:45], v[54:55], v[18:19], -v[87:88]
	v_fma_f64 v[18:19], v[56:57], v[18:19], v[20:21]
	v_fma_f64 v[36:37], v[58:59], v[22:23], -v[89:90]
	v_fma_f64 v[22:23], v[60:61], v[22:23], v[24:25]
	;; [unrolled: 2-line block ×4, first 2 shown]
	v_fma_f64 v[32:33], v[79:80], v[34:35], v[95:96]
	ds_read_b128 v[2:5], v107
	s_waitcnt lgkmcnt(0)
	s_barrier
	buffer_gl0_inv
	v_add_f64 v[89:90], v[38:39], -v[42:43]
	v_add_f64 v[93:94], v[42:43], -v[38:39]
	v_add_f64 v[20:21], v[42:43], v[8:9]
	v_add_f64 v[46:47], v[6:7], v[10:11]
	v_add_f64 v[60:61], v[6:7], -v[10:11]
	v_add_f64 v[50:51], v[38:39], v[14:15]
	v_add_f64 v[48:49], v[40:41], v[12:13]
	v_fma_f64 v[16:17], v[77:78], v[34:35], -v[16:17]
	v_add_f64 v[58:59], v[40:41], -v[12:13]
	v_add_f64 v[62:63], v[38:39], -v[14:15]
	;; [unrolled: 1-line block ×6, first 2 shown]
	v_add_f64 v[52:53], v[24:25], v[28:29]
	v_add_f64 v[83:84], v[26:27], v[30:31]
	;; [unrolled: 1-line block ×3, first 2 shown]
	v_add_f64 v[99:100], v[12:13], -v[10:11]
	v_add_f64 v[101:102], v[6:7], -v[40:41]
	;; [unrolled: 1-line block ×3, first 2 shown]
	v_add_f64 v[34:35], v[2:3], v[36:37]
	v_add_f64 v[81:82], v[4:5], v[22:23]
	;; [unrolled: 1-line block ×3, first 2 shown]
	v_add_f64 v[54:55], v[22:23], -v[32:33]
	v_fma_f64 v[20:21], v[20:21], -0.5, v[44:45]
	v_fma_f64 v[46:47], v[46:47], -0.5, v[18:19]
	v_add_f64 v[66:67], v[36:37], -v[24:25]
	v_fma_f64 v[50:51], v[50:51], -0.5, v[44:45]
	v_fma_f64 v[48:49], v[48:49], -0.5, v[18:19]
	v_add_f64 v[75:76], v[36:37], v[16:17]
	v_add_f64 v[18:19], v[18:19], v[40:41]
	v_add_f64 v[73:74], v[16:17], -v[28:29]
	v_add_f64 v[77:78], v[24:25], -v[36:37]
	v_add_f64 v[36:37], v[36:37], -v[16:17]
	v_add_f64 v[85:86], v[24:25], -v[28:29]
	v_add_f64 v[56:57], v[26:27], -v[30:31]
	v_fma_f64 v[40:41], v[52:53], -0.5, v[2:3]
	v_fma_f64 v[44:45], v[83:84], -0.5, v[4:5]
	;; [unrolled: 1-line block ×3, first 2 shown]
	v_add_f64 v[52:53], v[89:90], v[91:92]
	v_add_f64 v[83:84], v[97:98], v[99:100]
	;; [unrolled: 1-line block ×3, first 2 shown]
	v_add_f64 v[79:80], v[28:29], -v[16:17]
	v_add_f64 v[114:115], v[22:23], -v[26:27]
	;; [unrolled: 1-line block ×3, first 2 shown]
	v_add_f64 v[24:25], v[34:35], v[24:25]
	v_fma_f64 v[112:113], v[58:59], s[14:15], v[20:21]
	v_fma_f64 v[105:106], v[62:63], s[14:15], v[46:47]
	v_fma_f64 v[20:21], v[58:59], s[4:5], v[20:21]
	v_fma_f64 v[110:111], v[60:61], s[4:5], v[50:51]
	v_fma_f64 v[108:109], v[64:65], s[4:5], v[48:49]
	v_fma_f64 v[50:51], v[60:61], s[14:15], v[50:51]
	v_fma_f64 v[48:49], v[64:65], s[14:15], v[48:49]
	v_fma_f64 v[46:47], v[62:63], s[4:5], v[46:47]
	v_fma_f64 v[2:3], v[75:76], -0.5, v[2:3]
	v_add_f64 v[75:76], v[93:94], v[95:96]
	v_add_f64 v[26:27], v[81:82], v[26:27]
	;; [unrolled: 1-line block ×4, first 2 shown]
	v_add_f64 v[116:117], v[32:33], -v[30:31]
	v_add_f64 v[34:35], v[66:67], v[73:74]
	v_fma_f64 v[18:19], v[54:55], s[4:5], v[40:41]
	v_fma_f64 v[40:41], v[54:55], s[14:15], v[40:41]
	v_add_f64 v[118:119], v[30:31], -v[32:33]
	v_add_f64 v[24:25], v[24:25], v[28:29]
	v_fma_f64 v[95:96], v[60:61], s[16:17], v[112:113]
	v_fma_f64 v[89:90], v[64:65], s[16:17], v[105:106]
	;; [unrolled: 1-line block ×13, first 2 shown]
	v_add_f64 v[58:59], v[77:78], v[79:80]
	v_fma_f64 v[2:3], v[56:57], s[4:5], v[2:3]
	v_add_f64 v[26:27], v[26:27], v[30:31]
	v_add_f64 v[8:9], v[38:39], v[8:9]
	;; [unrolled: 1-line block ×3, first 2 shown]
	v_fma_f64 v[10:11], v[56:57], s[6:7], v[18:19]
	v_fma_f64 v[18:19], v[56:57], s[16:17], v[40:41]
	v_add_f64 v[22:23], v[22:23], v[118:119]
	v_add_f64 v[16:17], v[24:25], v[16:17]
	v_fma_f64 v[77:78], v[52:53], s[8:9], v[95:96]
	v_fma_f64 v[64:65], v[83:84], s[8:9], v[89:90]
	;; [unrolled: 1-line block ×8, first 2 shown]
	v_add_f64 v[52:53], v[114:115], v[116:117]
	v_fma_f64 v[30:31], v[85:86], s[16:17], v[60:61]
	v_fma_f64 v[38:39], v[85:86], s[6:7], v[44:45]
	;; [unrolled: 1-line block ×6, first 2 shown]
	v_add_f64 v[24:25], v[26:27], v[32:33]
	v_add_f64 v[8:9], v[8:9], v[14:15]
	;; [unrolled: 1-line block ×3, first 2 shown]
	v_fma_f64 v[26:27], v[34:35], s[8:9], v[10:11]
	v_fma_f64 v[34:35], v[34:35], s[8:9], v[18:19]
	v_mov_b32_e32 v79, 4
	v_lshlrev_b32_e32 v80, 4, v121
	v_mul_f64 v[54:55], v[77:78], s[18:19]
	v_mul_f64 v[36:37], v[64:65], s[6:7]
	;; [unrolled: 1-line block ×8, first 2 shown]
	v_fma_f64 v[30:31], v[52:53], s[8:9], v[30:31]
	v_fma_f64 v[38:39], v[52:53], s[8:9], v[38:39]
	;; [unrolled: 1-line block ×6, first 2 shown]
	v_add_f64 v[4:5], v[16:17], -v[8:9]
	v_add_f64 v[2:3], v[24:25], v[6:7]
	v_add_f64 v[6:7], v[24:25], -v[6:7]
	v_fma_f64 v[46:47], v[46:47], s[6:7], -v[54:55]
	v_fma_f64 v[36:37], v[20:21], s[18:19], v[36:37]
	v_fma_f64 v[44:45], v[48:49], s[4:5], -v[44:45]
	v_fma_f64 v[48:49], v[64:65], s[18:19], v[56:57]
	v_fma_f64 v[42:43], v[50:51], s[8:9], v[42:43]
	;; [unrolled: 1-line block ×3, first 2 shown]
	v_fma_f64 v[54:55], v[73:74], s[14:15], -v[62:63]
	v_fma_f64 v[56:57], v[77:78], s[16:17], -v[75:76]
	v_mul_u32_u24_sdwa v62, v0, v120 dst_sel:DWORD dst_unused:UNUSED_PAD src0_sel:WORD_0 src1_sel:DWORD
	v_lshlrev_b32_sdwa v63, v79, v1 dst_sel:DWORD dst_unused:UNUSED_PAD src0_sel:DWORD src1_sel:BYTE_0
	v_add_f64 v[0:1], v[16:17], v[8:9]
	v_add_co_u32 v60, s0, s12, v80
	v_add_co_ci_u32_e64 v61, null, s13, 0, s0
	v_add_co_u32 v58, s0, 0x990, v60
	v_add_co_ci_u32_e64 v59, s0, 0, v61, s0
	v_add_f64 v[20:21], v[34:35], v[46:47]
	v_add_f64 v[8:9], v[26:27], v[36:37]
	v_add_f64 v[24:25], v[26:27], -v[36:37]
	v_add_f64 v[16:17], v[32:33], v[44:45]
	v_add_f64 v[10:11], v[30:31], v[48:49]
	;; [unrolled: 1-line block ×6, first 2 shown]
	v_add_f64 v[26:27], v[30:31], -v[48:49]
	v_add_f64 v[28:29], v[28:29], -v[42:43]
	;; [unrolled: 1-line block ×7, first 2 shown]
	v_add_co_u32 v40, s0, 0x800, v60
	v_add_co_ci_u32_e64 v41, s0, 0, v61, s0
	v_add3_u32 v44, 0, v62, v63
	v_add_co_u32 v42, s0, 0x9d0, v60
	v_add_co_ci_u32_e64 v43, s0, 0, v61, s0
	ds_write_b128 v44, v[0:3]
	ds_write_b128 v44, v[4:7] offset:1360
	ds_write_b128 v44, v[8:11] offset:272
	;; [unrolled: 1-line block ×9, first 2 shown]
	s_waitcnt lgkmcnt(0)
	s_barrier
	buffer_gl0_inv
	s_clause 0x8
	global_load_dwordx4 v[0:3], v[58:59], off offset:32
	global_load_dwordx4 v[4:7], v[40:41], off offset:464
	;; [unrolled: 1-line block ×9, first 2 shown]
	ds_read_b128 v[36:39], v107 offset:8160
	ds_read_b128 v[40:43], v107 offset:13600
	;; [unrolled: 1-line block ×9, first 2 shown]
	s_waitcnt vmcnt(8) lgkmcnt(8)
	v_mul_f64 v[77:78], v[38:39], v[2:3]
	v_mul_f64 v[2:3], v[36:37], v[2:3]
	s_waitcnt vmcnt(7) lgkmcnt(7)
	v_mul_f64 v[79:80], v[42:43], v[6:7]
	v_mul_f64 v[6:7], v[40:41], v[6:7]
	s_waitcnt vmcnt(6) lgkmcnt(6)
	v_mul_f64 v[81:82], v[44:45], v[10:11]
	s_waitcnt vmcnt(5) lgkmcnt(5)
	v_mul_f64 v[83:84], v[48:49], v[14:15]
	v_mul_f64 v[14:15], v[50:51], v[14:15]
	;; [unrolled: 1-line block ×3, first 2 shown]
	s_waitcnt vmcnt(4) lgkmcnt(4)
	v_mul_f64 v[85:86], v[54:55], v[18:19]
	v_mul_f64 v[18:19], v[52:53], v[18:19]
	s_waitcnt vmcnt(3) lgkmcnt(3)
	v_mul_f64 v[87:88], v[58:59], v[22:23]
	v_mul_f64 v[22:23], v[56:57], v[22:23]
	;; [unrolled: 3-line block ×4, first 2 shown]
	s_waitcnt vmcnt(0) lgkmcnt(0)
	v_mul_f64 v[93:94], v[73:74], v[34:35]
	v_fma_f64 v[36:37], v[36:37], v[0:1], -v[77:78]
	v_fma_f64 v[38:39], v[38:39], v[0:1], v[2:3]
	v_fma_f64 v[40:41], v[40:41], v[4:5], -v[79:80]
	v_fma_f64 v[4:5], v[42:43], v[4:5], v[6:7]
	v_fma_f64 v[6:7], v[46:47], v[8:9], v[81:82]
	;; [unrolled: 1-line block ×3, first 2 shown]
	v_fma_f64 v[12:13], v[48:49], v[12:13], -v[14:15]
	v_fma_f64 v[8:9], v[44:45], v[8:9], -v[10:11]
	v_mul_f64 v[10:11], v[75:76], v[34:35]
	ds_read_b128 v[0:3], v107
	v_fma_f64 v[14:15], v[56:57], v[20:21], -v[87:88]
	v_fma_f64 v[20:21], v[58:59], v[20:21], v[22:23]
	v_fma_f64 v[22:23], v[60:61], v[24:25], -v[89:90]
	v_fma_f64 v[24:25], v[62:63], v[24:25], v[26:27]
	;; [unrolled: 2-line block ×4, first 2 shown]
	v_fma_f64 v[34:35], v[75:76], v[32:33], v[93:94]
	s_waitcnt lgkmcnt(0)
	s_barrier
	buffer_gl0_inv
	v_add_f64 v[87:88], v[36:37], -v[40:41]
	v_add_f64 v[91:92], v[40:41], -v[36:37]
	v_add_f64 v[18:19], v[4:5], v[6:7]
	v_add_f64 v[44:45], v[38:39], v[42:43]
	;; [unrolled: 1-line block ×4, first 2 shown]
	v_fma_f64 v[10:11], v[73:74], v[32:33], -v[10:11]
	v_add_f64 v[56:57], v[38:39], -v[42:43]
	v_add_f64 v[58:59], v[4:5], -v[6:7]
	;; [unrolled: 1-line block ×5, first 2 shown]
	v_add_f64 v[50:51], v[22:23], v[26:27]
	v_add_f64 v[81:82], v[24:25], v[28:29]
	v_add_f64 v[93:94], v[8:9], -v[12:13]
	v_add_f64 v[95:96], v[38:39], -v[4:5]
	v_add_f64 v[85:86], v[20:21], v[34:35]
	v_add_f64 v[97:98], v[42:43], -v[6:7]
	v_add_f64 v[99:100], v[4:5], -v[38:39]
	;; [unrolled: 1-line block ×3, first 2 shown]
	v_add_f64 v[32:33], v[0:1], v[14:15]
	v_add_f64 v[79:80], v[2:3], v[20:21]
	v_add_f64 v[52:53], v[20:21], -v[34:35]
	v_add_f64 v[54:55], v[24:25], -v[28:29]
	v_fma_f64 v[18:19], v[18:19], -0.5, v[16:17]
	v_fma_f64 v[44:45], v[44:45], -0.5, v[16:17]
	;; [unrolled: 1-line block ×4, first 2 shown]
	v_add_f64 v[73:74], v[14:15], v[10:11]
	v_add_f64 v[30:31], v[30:31], v[36:37]
	;; [unrolled: 1-line block ×3, first 2 shown]
	v_add_f64 v[64:65], v[14:15], -v[22:23]
	v_add_f64 v[66:67], v[10:11], -v[26:27]
	;; [unrolled: 1-line block ×5, first 2 shown]
	v_fma_f64 v[36:37], v[50:51], -0.5, v[0:1]
	v_fma_f64 v[38:39], v[81:82], -0.5, v[2:3]
	;; [unrolled: 1-line block ×3, first 2 shown]
	v_add_f64 v[50:51], v[87:88], v[89:90]
	v_add_f64 v[81:82], v[95:96], v[97:98]
	;; [unrolled: 1-line block ×3, first 2 shown]
	v_add_f64 v[77:78], v[26:27], -v[10:11]
	v_add_f64 v[112:113], v[20:21], -v[24:25]
	;; [unrolled: 1-line block ×3, first 2 shown]
	v_add_f64 v[22:23], v[32:33], v[22:23]
	v_fma_f64 v[103:104], v[60:61], s[14:15], v[18:19]
	v_fma_f64 v[105:106], v[62:63], s[4:5], v[44:45]
	;; [unrolled: 1-line block ×8, first 2 shown]
	v_fma_f64 v[0:1], v[73:74], -0.5, v[0:1]
	v_add_f64 v[73:74], v[91:92], v[93:94]
	v_add_f64 v[24:25], v[79:80], v[24:25]
	;; [unrolled: 1-line block ×4, first 2 shown]
	v_add_f64 v[114:115], v[34:35], -v[28:29]
	v_add_f64 v[116:117], v[28:29], -v[34:35]
	v_add_f64 v[32:33], v[64:65], v[66:67]
	v_fma_f64 v[16:17], v[52:53], s[4:5], v[36:37]
	v_fma_f64 v[36:37], v[52:53], s[14:15], v[36:37]
	v_add_f64 v[22:23], v[22:23], v[26:27]
	v_fma_f64 v[87:88], v[62:63], s[16:17], v[103:104]
	v_fma_f64 v[89:90], v[60:61], s[16:17], v[105:106]
	;; [unrolled: 1-line block ×14, first 2 shown]
	v_add_f64 v[56:57], v[75:76], v[77:78]
	v_add_f64 v[24:25], v[24:25], v[28:29]
	;; [unrolled: 1-line block ×5, first 2 shown]
	v_fma_f64 v[6:7], v[54:55], s[6:7], v[16:17]
	v_fma_f64 v[16:17], v[54:55], s[16:17], v[36:37]
	v_add_f64 v[10:11], v[22:23], v[10:11]
	v_fma_f64 v[62:63], v[81:82], s[8:9], v[87:88]
	v_fma_f64 v[64:65], v[85:86], s[8:9], v[89:90]
	;; [unrolled: 1-line block ×8, first 2 shown]
	v_add_f64 v[50:51], v[112:113], v[114:115]
	v_fma_f64 v[26:27], v[52:53], s[6:7], v[40:41]
	v_fma_f64 v[28:29], v[83:84], s[16:17], v[58:59]
	v_fma_f64 v[30:31], v[83:84], s[6:7], v[38:39]
	v_fma_f64 v[36:37], v[14:15], s[16:17], v[60:61]
	v_fma_f64 v[2:3], v[14:15], s[6:7], v[2:3]
	v_fma_f64 v[0:1], v[52:53], s[16:17], v[0:1]
	v_add_f64 v[22:23], v[24:25], v[34:35]
	v_add_f64 v[8:9], v[8:9], v[12:13]
	;; [unrolled: 1-line block ×3, first 2 shown]
	v_fma_f64 v[24:25], v[32:33], s[8:9], v[6:7]
	v_fma_f64 v[34:35], v[32:33], s[8:9], v[16:17]
	v_mul_f64 v[14:15], v[62:63], s[6:7]
	v_mul_f64 v[38:39], v[64:65], s[4:5]
	;; [unrolled: 1-line block ×8, first 2 shown]
	v_fma_f64 v[26:27], v[56:57], s[8:9], v[26:27]
	v_fma_f64 v[42:43], v[50:51], s[8:9], v[28:29]
	;; [unrolled: 1-line block ×6, first 2 shown]
	v_add_f64 v[0:1], v[10:11], v[8:9]
	v_add_f64 v[2:3], v[22:23], v[12:13]
	v_add_f64 v[4:5], v[10:11], -v[8:9]
	v_add_f64 v[6:7], v[22:23], -v[12:13]
	v_fma_f64 v[28:29], v[48:49], s[18:19], v[14:15]
	v_fma_f64 v[36:37], v[46:47], s[8:9], v[38:39]
	v_fma_f64 v[38:39], v[44:45], s[4:5], -v[40:41]
	v_fma_f64 v[40:41], v[18:19], s[6:7], -v[52:53]
	v_fma_f64 v[44:45], v[62:63], s[18:19], v[54:55]
	v_fma_f64 v[46:47], v[64:65], s[8:9], v[58:59]
	v_fma_f64 v[48:49], v[66:67], s[14:15], -v[60:61]
	v_fma_f64 v[52:53], v[75:76], s[16:17], -v[73:74]
	v_add_f64 v[8:9], v[24:25], v[28:29]
	v_add_f64 v[12:13], v[26:27], v[36:37]
	;; [unrolled: 1-line block ×8, first 2 shown]
	v_add_f64 v[24:25], v[24:25], -v[28:29]
	v_add_f64 v[28:29], v[26:27], -v[36:37]
	;; [unrolled: 1-line block ×8, first 2 shown]
	ds_write_b128 v107, v[0:3]
	ds_write_b128 v107, v[4:7] offset:13600
	ds_write_b128 v107, v[8:11] offset:2720
	;; [unrolled: 1-line block ×9, first 2 shown]
	s_waitcnt lgkmcnt(0)
	s_barrier
	buffer_gl0_inv
	s_and_saveexec_b32 s0, vcc_lo
	s_cbranch_execz .LBB0_23
; %bb.22:
	v_mul_lo_u32 v2, s3, v70
	v_mul_lo_u32 v3, s2, v71
	v_mad_u64_u32 v[0:1], null, s2, v70, 0
	v_mov_b32_e32 v73, 0
	v_lshl_add_u32 v30, v72, 4, 0
	v_lshlrev_b64 v[12:13], 4, v[68:69]
	v_add_nc_u32_e32 v14, 0xaa, v72
	v_add_nc_u32_e32 v16, 0x154, v72
	v_mov_b32_e32 v15, v73
	v_add3_u32 v1, v1, v3, v2
	v_lshlrev_b64 v[18:19], 4, v[72:73]
	v_mov_b32_e32 v17, v73
	v_add_nc_u32_e32 v28, 0x2a8, v72
	v_mov_b32_e32 v29, v73
	v_lshlrev_b64 v[8:9], 4, v[0:1]
	ds_read_b128 v[0:3], v30
	ds_read_b128 v[4:7], v30 offset:2720
	v_add_co_u32 v20, vcc_lo, s10, v8
	v_add_co_ci_u32_e32 v21, vcc_lo, s11, v9, vcc_lo
	ds_read_b128 v[8:11], v30 offset:5440
	v_add_co_u32 v31, vcc_lo, v20, v12
	v_add_co_ci_u32_e32 v32, vcc_lo, v21, v13, vcc_lo
	v_lshlrev_b64 v[12:13], 4, v[14:15]
	v_add_co_u32 v20, vcc_lo, v31, v18
	v_lshlrev_b64 v[14:15], 4, v[16:17]
	v_add_nc_u32_e32 v16, 0x1fe, v72
	v_add_co_ci_u32_e32 v21, vcc_lo, v32, v19, vcc_lo
	v_add_co_u32 v22, vcc_lo, v31, v12
	v_add_co_ci_u32_e32 v23, vcc_lo, v32, v13, vcc_lo
	v_lshlrev_b64 v[26:27], 4, v[16:17]
	ds_read_b128 v[16:19], v30 offset:10880
	v_add_co_u32 v24, vcc_lo, v31, v14
	v_add_co_ci_u32_e32 v25, vcc_lo, v32, v15, vcc_lo
	ds_read_b128 v[12:15], v30 offset:8160
	s_waitcnt lgkmcnt(4)
	global_store_dwordx4 v[20:21], v[0:3], off
	s_waitcnt lgkmcnt(3)
	global_store_dwordx4 v[22:23], v[4:7], off
	;; [unrolled: 2-line block ×3, first 2 shown]
	v_lshlrev_b64 v[0:1], 4, v[28:29]
	v_add_co_u32 v2, vcc_lo, v31, v26
	v_add_co_ci_u32_e32 v3, vcc_lo, v32, v27, vcc_lo
	v_add_nc_u32_e32 v4, 0x352, v72
	v_mov_b32_e32 v5, v73
	v_add_co_u32 v6, vcc_lo, v31, v0
	v_add_co_ci_u32_e32 v7, vcc_lo, v32, v1, vcc_lo
	v_add_nc_u32_e32 v8, 0x3fc, v72
	v_mov_b32_e32 v9, v73
	v_lshlrev_b64 v[4:5], 4, v[4:5]
	s_waitcnt lgkmcnt(1)
	global_store_dwordx4 v[6:7], v[16:19], off
	v_add_nc_u32_e32 v24, 0x550, v72
	v_mov_b32_e32 v25, v73
	v_lshlrev_b64 v[6:7], 4, v[8:9]
	s_waitcnt lgkmcnt(0)
	global_store_dwordx4 v[2:3], v[12:15], off
	v_add_co_u32 v20, vcc_lo, v31, v4
	v_add_nc_u32_e32 v12, 0x4a6, v72
	v_mov_b32_e32 v13, v73
	v_add_co_ci_u32_e32 v21, vcc_lo, v32, v5, vcc_lo
	v_add_co_u32 v22, vcc_lo, v31, v6
	ds_read_b128 v[0:3], v30 offset:13600
	v_add_co_ci_u32_e32 v23, vcc_lo, v32, v7, vcc_lo
	ds_read_b128 v[4:7], v30 offset:16320
	ds_read_b128 v[8:11], v30 offset:19040
	v_lshlrev_b64 v[26:27], 4, v[12:13]
	ds_read_b128 v[12:15], v30 offset:21760
	ds_read_b128 v[16:19], v30 offset:24480
	v_add_nc_u32_e32 v72, 0x5fa, v72
	v_lshlrev_b64 v[24:25], 4, v[24:25]
	v_add_co_u32 v26, vcc_lo, v31, v26
	v_lshlrev_b64 v[28:29], 4, v[72:73]
	v_add_co_ci_u32_e32 v27, vcc_lo, v32, v27, vcc_lo
	v_add_co_u32 v24, vcc_lo, v31, v24
	v_add_co_ci_u32_e32 v25, vcc_lo, v32, v25, vcc_lo
	v_add_co_u32 v28, vcc_lo, v31, v28
	v_add_co_ci_u32_e32 v29, vcc_lo, v32, v29, vcc_lo
	s_waitcnt lgkmcnt(4)
	global_store_dwordx4 v[20:21], v[0:3], off
	s_waitcnt lgkmcnt(3)
	global_store_dwordx4 v[22:23], v[4:7], off
	;; [unrolled: 2-line block ×5, first 2 shown]
.LBB0_23:
	s_endpgm
	.section	.rodata,"a",@progbits
	.p2align	6, 0x0
	.amdhsa_kernel fft_rtc_fwd_len1700_factors_17_10_10_wgs_170_tpt_170_halfLds_dp_op_CI_CI_unitstride_sbrr_C2R_dirReg
		.amdhsa_group_segment_fixed_size 0
		.amdhsa_private_segment_fixed_size 0
		.amdhsa_kernarg_size 104
		.amdhsa_user_sgpr_count 6
		.amdhsa_user_sgpr_private_segment_buffer 1
		.amdhsa_user_sgpr_dispatch_ptr 0
		.amdhsa_user_sgpr_queue_ptr 0
		.amdhsa_user_sgpr_kernarg_segment_ptr 1
		.amdhsa_user_sgpr_dispatch_id 0
		.amdhsa_user_sgpr_flat_scratch_init 0
		.amdhsa_user_sgpr_private_segment_size 0
		.amdhsa_wavefront_size32 1
		.amdhsa_uses_dynamic_stack 0
		.amdhsa_system_sgpr_private_segment_wavefront_offset 0
		.amdhsa_system_sgpr_workgroup_id_x 1
		.amdhsa_system_sgpr_workgroup_id_y 0
		.amdhsa_system_sgpr_workgroup_id_z 0
		.amdhsa_system_sgpr_workgroup_info 0
		.amdhsa_system_vgpr_workitem_id 0
		.amdhsa_next_free_vgpr 162
		.amdhsa_next_free_sgpr 56
		.amdhsa_reserve_vcc 1
		.amdhsa_reserve_flat_scratch 0
		.amdhsa_float_round_mode_32 0
		.amdhsa_float_round_mode_16_64 0
		.amdhsa_float_denorm_mode_32 3
		.amdhsa_float_denorm_mode_16_64 3
		.amdhsa_dx10_clamp 1
		.amdhsa_ieee_mode 1
		.amdhsa_fp16_overflow 0
		.amdhsa_workgroup_processor_mode 1
		.amdhsa_memory_ordered 1
		.amdhsa_forward_progress 0
		.amdhsa_shared_vgpr_count 0
		.amdhsa_exception_fp_ieee_invalid_op 0
		.amdhsa_exception_fp_denorm_src 0
		.amdhsa_exception_fp_ieee_div_zero 0
		.amdhsa_exception_fp_ieee_overflow 0
		.amdhsa_exception_fp_ieee_underflow 0
		.amdhsa_exception_fp_ieee_inexact 0
		.amdhsa_exception_int_div_zero 0
	.end_amdhsa_kernel
	.text
.Lfunc_end0:
	.size	fft_rtc_fwd_len1700_factors_17_10_10_wgs_170_tpt_170_halfLds_dp_op_CI_CI_unitstride_sbrr_C2R_dirReg, .Lfunc_end0-fft_rtc_fwd_len1700_factors_17_10_10_wgs_170_tpt_170_halfLds_dp_op_CI_CI_unitstride_sbrr_C2R_dirReg
                                        ; -- End function
	.section	.AMDGPU.csdata,"",@progbits
; Kernel info:
; codeLenInByte = 13580
; NumSgprs: 58
; NumVgprs: 162
; ScratchSize: 0
; MemoryBound: 0
; FloatMode: 240
; IeeeMode: 1
; LDSByteSize: 0 bytes/workgroup (compile time only)
; SGPRBlocks: 7
; VGPRBlocks: 20
; NumSGPRsForWavesPerEU: 58
; NumVGPRsForWavesPerEU: 162
; Occupancy: 5
; WaveLimiterHint : 1
; COMPUTE_PGM_RSRC2:SCRATCH_EN: 0
; COMPUTE_PGM_RSRC2:USER_SGPR: 6
; COMPUTE_PGM_RSRC2:TRAP_HANDLER: 0
; COMPUTE_PGM_RSRC2:TGID_X_EN: 1
; COMPUTE_PGM_RSRC2:TGID_Y_EN: 0
; COMPUTE_PGM_RSRC2:TGID_Z_EN: 0
; COMPUTE_PGM_RSRC2:TIDIG_COMP_CNT: 0
	.text
	.p2alignl 6, 3214868480
	.fill 48, 4, 3214868480
	.type	__hip_cuid_5401c749ca2068bf,@object ; @__hip_cuid_5401c749ca2068bf
	.section	.bss,"aw",@nobits
	.globl	__hip_cuid_5401c749ca2068bf
__hip_cuid_5401c749ca2068bf:
	.byte	0                               ; 0x0
	.size	__hip_cuid_5401c749ca2068bf, 1

	.ident	"AMD clang version 19.0.0git (https://github.com/RadeonOpenCompute/llvm-project roc-6.4.0 25133 c7fe45cf4b819c5991fe208aaa96edf142730f1d)"
	.section	".note.GNU-stack","",@progbits
	.addrsig
	.addrsig_sym __hip_cuid_5401c749ca2068bf
	.amdgpu_metadata
---
amdhsa.kernels:
  - .args:
      - .actual_access:  read_only
        .address_space:  global
        .offset:         0
        .size:           8
        .value_kind:     global_buffer
      - .offset:         8
        .size:           8
        .value_kind:     by_value
      - .actual_access:  read_only
        .address_space:  global
        .offset:         16
        .size:           8
        .value_kind:     global_buffer
      - .actual_access:  read_only
        .address_space:  global
        .offset:         24
        .size:           8
        .value_kind:     global_buffer
      - .actual_access:  read_only
        .address_space:  global
        .offset:         32
        .size:           8
        .value_kind:     global_buffer
      - .offset:         40
        .size:           8
        .value_kind:     by_value
      - .actual_access:  read_only
        .address_space:  global
        .offset:         48
        .size:           8
        .value_kind:     global_buffer
      - .actual_access:  read_only
        .address_space:  global
        .offset:         56
        .size:           8
        .value_kind:     global_buffer
      - .offset:         64
        .size:           4
        .value_kind:     by_value
      - .actual_access:  read_only
        .address_space:  global
        .offset:         72
        .size:           8
        .value_kind:     global_buffer
      - .actual_access:  read_only
        .address_space:  global
        .offset:         80
        .size:           8
        .value_kind:     global_buffer
      - .actual_access:  read_only
        .address_space:  global
        .offset:         88
        .size:           8
        .value_kind:     global_buffer
      - .actual_access:  write_only
        .address_space:  global
        .offset:         96
        .size:           8
        .value_kind:     global_buffer
    .group_segment_fixed_size: 0
    .kernarg_segment_align: 8
    .kernarg_segment_size: 104
    .language:       OpenCL C
    .language_version:
      - 2
      - 0
    .max_flat_workgroup_size: 170
    .name:           fft_rtc_fwd_len1700_factors_17_10_10_wgs_170_tpt_170_halfLds_dp_op_CI_CI_unitstride_sbrr_C2R_dirReg
    .private_segment_fixed_size: 0
    .sgpr_count:     58
    .sgpr_spill_count: 0
    .symbol:         fft_rtc_fwd_len1700_factors_17_10_10_wgs_170_tpt_170_halfLds_dp_op_CI_CI_unitstride_sbrr_C2R_dirReg.kd
    .uniform_work_group_size: 1
    .uses_dynamic_stack: false
    .vgpr_count:     162
    .vgpr_spill_count: 0
    .wavefront_size: 32
    .workgroup_processor_mode: 1
amdhsa.target:   amdgcn-amd-amdhsa--gfx1030
amdhsa.version:
  - 1
  - 2
...

	.end_amdgpu_metadata
